;; amdgpu-corpus repo=ROCm/rocFFT kind=compiled arch=gfx906 opt=O3
	.text
	.amdgcn_target "amdgcn-amd-amdhsa--gfx906"
	.amdhsa_code_object_version 6
	.protected	bluestein_single_back_len1400_dim1_sp_op_CI_CI ; -- Begin function bluestein_single_back_len1400_dim1_sp_op_CI_CI
	.globl	bluestein_single_back_len1400_dim1_sp_op_CI_CI
	.p2align	8
	.type	bluestein_single_back_len1400_dim1_sp_op_CI_CI,@function
bluestein_single_back_len1400_dim1_sp_op_CI_CI: ; @bluestein_single_back_len1400_dim1_sp_op_CI_CI
; %bb.0:
	s_load_dwordx4 s[8:11], s[4:5], 0x28
	s_mov_b64 s[22:23], s[2:3]
	v_mul_u32_u24_e32 v1, 0x493, v0
	s_mov_b64 s[20:21], s[0:1]
	v_add_u32_sdwa v172, s6, v1 dst_sel:DWORD dst_unused:UNUSED_PAD src0_sel:DWORD src1_sel:WORD_1
	v_mov_b32_e32 v173, 0
	s_add_u32 s20, s20, s7
	s_waitcnt lgkmcnt(0)
	v_cmp_gt_u64_e32 vcc, s[8:9], v[172:173]
	s_addc_u32 s21, s21, 0
	s_and_saveexec_b64 s[0:1], vcc
	s_cbranch_execz .LBB0_39
; %bb.1:
	s_load_dwordx4 s[12:15], s[4:5], 0x18
	v_mov_b32_e32 v2, 56
	v_mul_lo_u16_sdwa v1, v1, v2 dst_sel:DWORD dst_unused:UNUSED_PAD src0_sel:WORD_1 src1_sel:DWORD
	v_sub_u16_e32 v211, v0, v1
	v_lshlrev_b32_e32 v209, 3, v211
	s_waitcnt lgkmcnt(0)
	s_load_dwordx4 s[0:3], s[12:13], 0x0
	v_or_b32_e32 v210, 0x1c0, v211
	s_load_dwordx2 s[12:13], s[4:5], 0x0
	s_waitcnt lgkmcnt(0)
	v_mad_u64_u32 v[0:1], s[6:7], s2, v172, 0
	v_mad_u64_u32 v[2:3], s[6:7], s0, v211, 0
	s_movk_i32 s6, 0x1000
	s_mul_hi_u32 s7, s0, 0xfffffd7c
	v_mad_u64_u32 v[4:5], s[2:3], s3, v172, v[1:2]
	global_load_dwordx2 v[181:182], v209, s[12:13]
	s_sub_i32 s7, s7, s0
	v_mad_u64_u32 v[5:6], s[2:3], s1, v211, v[3:4]
	v_mov_b32_e32 v1, v4
	v_lshlrev_b64 v[0:1], 3, v[0:1]
	v_mov_b32_e32 v6, s11
	v_mov_b32_e32 v3, v5
	v_add_co_u32_e32 v29, vcc, s10, v0
	v_addc_co_u32_e32 v30, vcc, v6, v1, vcc
	v_lshlrev_b64 v[0:1], 3, v[2:3]
	s_mul_i32 s2, s1, 0x2bc
	v_add_co_u32_e32 v0, vcc, v29, v0
	v_addc_co_u32_e32 v1, vcc, v30, v1, vcc
	s_mul_hi_u32 s3, s0, 0x2bc
	v_mov_b32_e32 v2, s13
	v_add_co_u32_e32 v207, vcc, s12, v209
	s_add_i32 s3, s3, s2
	s_mul_i32 s2, s0, 0x2bc
	v_addc_co_u32_e32 v208, vcc, 0, v2, vcc
	s_lshl_b64 s[2:3], s[2:3], 3
	v_mov_b32_e32 v41, s3
	v_add_co_u32_e32 v2, vcc, s2, v0
	v_addc_co_u32_e32 v3, vcc, v1, v41, vcc
	global_load_dwordx2 v[4:5], v[0:1], off
	global_load_dwordx2 v[6:7], v[2:3], off
	v_add_co_u32_e32 v0, vcc, s6, v207
	s_mul_i32 s6, s1, 0xfffffd7c
	s_add_i32 s7, s7, s6
	s_mul_i32 s6, s0, 0xfffffd7c
	v_addc_co_u32_e32 v1, vcc, 0, v208, vcc
	s_lshl_b64 s[16:17], s[6:7], 3
	v_mov_b32_e32 v39, s17
	v_add_co_u32_e32 v2, vcc, s16, v2
	v_addc_co_u32_e32 v3, vcc, v3, v39, vcc
	global_load_dwordx2 v[179:180], v[0:1], off offset:1504
	global_load_dwordx2 v[8:9], v[2:3], off
	global_load_dwordx2 v[175:176], v209, s[12:13] offset:448
	v_add_co_u32_e32 v2, vcc, s2, v2
	v_addc_co_u32_e32 v3, vcc, v3, v41, vcc
	global_load_dwordx2 v[10:11], v[2:3], off
	global_load_dwordx2 v[173:174], v[0:1], off offset:1952
	v_add_co_u32_e32 v2, vcc, s16, v2
	v_addc_co_u32_e32 v3, vcc, v3, v39, vcc
	global_load_dwordx2 v[12:13], v[2:3], off
	global_load_dwordx2 v[168:169], v209, s[12:13] offset:896
	v_add_co_u32_e32 v2, vcc, s2, v2
	v_addc_co_u32_e32 v3, vcc, v3, v41, vcc
	global_load_dwordx2 v[14:15], v[2:3], off
	global_load_dwordx2 v[164:165], v[0:1], off offset:2400
	v_add_co_u32_e32 v2, vcc, s16, v2
	v_addc_co_u32_e32 v3, vcc, v3, v39, vcc
	global_load_dwordx2 v[162:163], v209, s[12:13] offset:1344
	global_load_dwordx2 v[16:17], v[2:3], off
	s_load_dwordx2 s[6:7], s[4:5], 0x38
	s_load_dwordx4 s[8:11], s[14:15], 0x0
	global_load_dwordx2 v[154:155], v[0:1], off offset:384
	global_load_dwordx2 v[152:153], v[0:1], off offset:832
	s_movk_i32 s14, 0x2000
	s_waitcnt vmcnt(14)
	v_mul_f32_e32 v18, v5, v182
	v_mul_f32_e32 v19, v4, v182
	v_fmac_f32_e32 v18, v4, v181
	v_fma_f32 v19, v5, v181, -v19
	s_waitcnt vmcnt(12)
	v_mul_f32_e32 v4, v7, v180
	v_mul_f32_e32 v5, v6, v180
	v_fmac_f32_e32 v4, v6, v179
	v_fma_f32 v5, v7, v179, -v5
	;; [unrolled: 5-line block ×3, first 2 shown]
	ds_write_b64 v209, v[4:5] offset:5600
	ds_write2_b64 v209, v[18:19], v[6:7] offset1:56
	s_waitcnt vmcnt(8)
	v_mul_f32_e32 v4, v11, v174
	v_mul_f32_e32 v5, v10, v174
	global_load_dwordx2 v[199:200], v[0:1], off offset:2848
	global_load_dwordx2 v[193:194], v[0:1], off offset:3296
	;; [unrolled: 1-line block ×3, first 2 shown]
	v_fmac_f32_e32 v4, v10, v173
	v_fma_f32 v5, v11, v173, -v5
	v_add_u32_e32 v8, 0x1400, v209
	s_waitcnt vmcnt(7)
	v_mul_f32_e32 v0, v15, v165
	v_mul_f32_e32 v1, v14, v165
	v_fmac_f32_e32 v0, v14, v164
	v_fma_f32 v1, v15, v164, -v1
	ds_write2_b64 v8, v[4:5], v[0:1] offset0:116 offset1:172
	s_waitcnt vmcnt(5)
	v_mul_f32_e32 v0, v16, v163
	v_fma_f32 v5, v17, v162, -v0
	v_add_co_u32_e32 v0, vcc, s2, v2
	v_addc_co_u32_e32 v1, vcc, v3, v41, vcc
	global_load_dwordx2 v[2:3], v[0:1], off
	v_add_co_u32_e32 v0, vcc, s16, v0
	v_addc_co_u32_e32 v1, vcc, v1, v39, vcc
	global_load_dwordx2 v[8:9], v[0:1], off
	global_load_dwordx2 v[197:198], v209, s[12:13] offset:1792
	v_add_co_u32_e32 v0, vcc, s2, v0
	v_addc_co_u32_e32 v1, vcc, v1, v41, vcc
	global_load_dwordx2 v[10:11], v[0:1], off
	v_add_co_u32_e32 v0, vcc, s16, v0
	v_mul_f32_e32 v6, v13, v169
	v_mul_f32_e32 v7, v12, v169
	v_addc_co_u32_e32 v1, vcc, v1, v39, vcc
	v_fmac_f32_e32 v6, v12, v168
	v_fma_f32 v7, v13, v168, -v7
	global_load_dwordx2 v[12:13], v[0:1], off
	v_add_co_u32_e32 v0, vcc, s2, v0
	v_addc_co_u32_e32 v1, vcc, v1, v41, vcc
	global_load_dwordx2 v[14:15], v[0:1], off
	v_add_co_u32_e32 v0, vcc, s16, v0
	v_mul_f32_e32 v4, v17, v163
	v_addc_co_u32_e32 v1, vcc, v1, v39, vcc
	v_fmac_f32_e32 v4, v16, v162
	global_load_dwordx2 v[16:17], v[0:1], off
	v_add_co_u32_e32 v0, vcc, s2, v0
	v_addc_co_u32_e32 v1, vcc, v1, v41, vcc
	v_add_co_u32_e32 v20, vcc, s14, v207
	v_addc_co_u32_e32 v21, vcc, 0, v208, vcc
	global_load_dwordx2 v[18:19], v[0:1], off
	v_add_co_u32_e32 v0, vcc, s16, v0
	v_addc_co_u32_e32 v1, vcc, v1, v39, vcc
	global_load_dwordx2 v[187:188], v[20:21], off offset:96
	global_load_dwordx2 v[195:196], v209, s[12:13] offset:2240
	global_load_dwordx2 v[24:25], v[0:1], off
	global_load_dwordx2 v[191:192], v209, s[12:13] offset:2688
	global_load_dwordx2 v[185:186], v209, s[12:13] offset:3136
	v_mad_u64_u32 v[22:23], s[14:15], s0, v210, 0
	v_add_co_u32_e32 v0, vcc, s2, v0
	v_addc_co_u32_e32 v1, vcc, v1, v41, vcc
	s_waitcnt vmcnt(2)
	v_mad_u64_u32 v[26:27], s[14:15], s1, v210, v[23:24]
	global_load_dwordx2 v[27:28], v[0:1], off
	v_mov_b32_e32 v23, v26
	v_mov_b32_e32 v26, 0x1c0
	v_mad_u64_u32 v[0:1], s[14:15], s0, v26, v[0:1]
	v_lshlrev_b64 v[22:23], 3, v[22:23]
	s_mul_i32 s0, s1, 0x1c0
	v_add_co_u32_e32 v22, vcc, v29, v22
	v_addc_co_u32_e32 v23, vcc, v30, v23, vcc
	v_add_u32_e32 v1, s0, v1
	global_load_dwordx2 v[22:23], v[22:23], off
	s_nop 0
	global_load_dwordx2 v[177:178], v209, s[12:13] offset:3584
	global_load_dwordx2 v[183:184], v[20:21], off offset:544
	global_load_dwordx2 v[29:30], v[0:1], off
	global_load_dwordx2 v[170:171], v[20:21], off offset:992
	v_add_co_u32_e32 v0, vcc, s16, v0
	v_addc_co_u32_e32 v1, vcc, v1, v39, vcc
	global_load_dwordx2 v[31:32], v[0:1], off
	global_load_dwordx2 v[166:167], v209, s[12:13] offset:4032
	v_add_co_u32_e32 v0, vcc, s2, v0
	v_addc_co_u32_e32 v1, vcc, v1, v41, vcc
	global_load_dwordx2 v[33:34], v[0:1], off
	global_load_dwordx2 v[160:161], v[20:21], off offset:1440
	v_add_co_u32_e32 v0, vcc, s16, v0
	v_addc_co_u32_e32 v1, vcc, v1, v39, vcc
	global_load_dwordx2 v[35:36], v[0:1], off
	v_add_co_u32_e32 v0, vcc, s2, v0
	v_addc_co_u32_e32 v1, vcc, v1, v41, vcc
	global_load_dwordx2 v[37:38], v[0:1], off
	global_load_dwordx2 v[158:159], v[20:21], off offset:1888
	v_add_co_u32_e32 v0, vcc, s16, v0
	v_addc_co_u32_e32 v1, vcc, v1, v39, vcc
	global_load_dwordx2 v[39:40], v[0:1], off
	v_add_co_u32_e32 v0, vcc, s2, v0
	v_addc_co_u32_e32 v1, vcc, v1, v41, vcc
	global_load_dwordx2 v[41:42], v[0:1], off
	global_load_dwordx2 v[156:157], v[20:21], off offset:2336
	ds_write2_b64 v209, v[6:7], v[4:5] offset0:112 offset1:168
	v_mul_f32_e32 v4, v3, v200
	v_fmac_f32_e32 v4, v2, v199
	v_mul_f32_e32 v2, v2, v200
	v_fma_f32 v5, v3, v199, -v2
	v_mul_f32_e32 v6, v9, v198
	v_mul_f32_e32 v2, v8, v198
	v_fmac_f32_e32 v6, v8, v197
	v_fma_f32 v7, v9, v197, -v2
	v_mul_f32_e32 v8, v11, v194
	v_mul_f32_e32 v2, v10, v194
	v_fmac_f32_e32 v8, v10, v193
	v_fma_f32 v9, v11, v193, -v2
	v_add_u32_e32 v2, 0x1800, v209
	ds_write2_b64 v2, v[4:5], v[8:9] offset0:100 offset1:156
	v_mul_f32_e32 v4, v13, v196
	v_mul_f32_e32 v3, v12, v196
	v_fmac_f32_e32 v4, v12, v195
	v_fma_f32 v5, v13, v195, -v3
	v_add_u32_e32 v3, 0x400, v209
	ds_write2_b64 v3, v[6:7], v[4:5] offset0:96 offset1:152
	v_mul_f32_e32 v4, v15, v190
	v_mul_f32_e32 v5, v14, v190
	;; [unrolled: 1-line block ×4, first 2 shown]
	v_fmac_f32_e32 v4, v14, v189
	v_fma_f32 v5, v15, v189, -v5
	v_fmac_f32_e32 v8, v18, v187
	v_fma_f32 v9, v19, v187, -v9
	v_add_u32_e32 v10, 0x1c00, v209
	s_waitcnt vmcnt(17)
	v_mul_f32_e32 v6, v17, v192
	v_mul_f32_e32 v7, v16, v192
	ds_write2_b64 v10, v[4:5], v[8:9] offset0:84 offset1:140
	s_waitcnt vmcnt(16)
	v_mul_f32_e32 v8, v25, v186
	v_mul_f32_e32 v4, v24, v186
	v_fmac_f32_e32 v6, v16, v191
	v_fma_f32 v7, v17, v191, -v7
	v_fmac_f32_e32 v8, v24, v185
	v_fma_f32 v9, v25, v185, -v4
	v_add_u32_e32 v4, 0x800, v209
	ds_write2_b64 v4, v[6:7], v[8:9] offset0:80 offset1:136
	v_add_u32_e32 v16, 0x2000, v209
	v_add_u32_e32 v17, 0x1000, v209
	v_cmp_gt_u16_e64 s[0:1], 28, v211
	s_waitcnt vmcnt(13)
	v_mul_f32_e32 v7, v23, v178
	s_waitcnt vmcnt(12)
	v_mul_f32_e32 v5, v28, v184
	v_mul_f32_e32 v6, v27, v184
	s_waitcnt vmcnt(10)
	v_mul_f32_e32 v9, v30, v171
	v_mul_f32_e32 v10, v29, v171
	v_fmac_f32_e32 v5, v27, v183
	v_fma_f32 v6, v28, v183, -v6
	v_fmac_f32_e32 v9, v29, v170
	v_fma_f32 v10, v30, v170, -v10
	v_mul_f32_e32 v8, v22, v178
	ds_write2_b64 v16, v[5:6], v[9:10] offset0:68 offset1:124
	s_waitcnt vmcnt(8)
	v_mul_f32_e32 v5, v32, v167
	v_mul_f32_e32 v6, v31, v167
	v_fmac_f32_e32 v7, v22, v177
	v_fma_f32 v8, v23, v177, -v8
	v_fmac_f32_e32 v5, v31, v166
	v_fma_f32 v6, v32, v166, -v6
	ds_write2_b64 v4, v[7:8], v[5:6] offset0:192 offset1:248
	s_waitcnt vmcnt(6)
	v_mul_f32_e32 v5, v34, v161
	v_mul_f32_e32 v6, v33, v161
	v_fmac_f32_e32 v5, v33, v160
	v_fma_f32 v6, v34, v160, -v6
	s_waitcnt vmcnt(3)
	v_mul_f32_e32 v9, v38, v159
	v_mul_f32_e32 v10, v37, v159
	v_fmac_f32_e32 v9, v37, v158
	v_fma_f32 v10, v38, v158, -v10
	v_mul_f32_e32 v7, v36, v155
	v_mul_f32_e32 v8, v35, v155
	ds_write2_b64 v16, v[5:6], v[9:10] offset0:180 offset1:236
	s_waitcnt vmcnt(2)
	v_mul_f32_e32 v5, v40, v153
	v_mul_f32_e32 v6, v39, v153
	v_fmac_f32_e32 v7, v35, v154
	v_fma_f32 v8, v36, v154, -v8
	v_fmac_f32_e32 v5, v39, v152
	v_fma_f32 v6, v40, v152, -v6
	ds_write2_b64 v17, v[7:8], v[5:6] offset0:48 offset1:104
	s_waitcnt vmcnt(0)
	v_mul_f32_e32 v5, v42, v157
	v_mul_f32_e32 v6, v41, v157
	v_fmac_f32_e32 v5, v41, v156
	v_fma_f32 v6, v42, v156, -v6
	ds_write_b64 v209, v[5:6] offset:10528
	s_and_saveexec_b64 s[14:15], s[0:1]
	s_cbranch_execz .LBB0_3
; %bb.2:
	v_mov_b32_e32 v5, s17
	v_add_co_u32_e32 v0, vcc, s16, v0
	v_addc_co_u32_e32 v1, vcc, v1, v5, vcc
	v_add_co_u32_e32 v7, vcc, 0x1000, v207
	v_addc_co_u32_e32 v8, vcc, 0, v208, vcc
	global_load_dwordx2 v[5:6], v[0:1], off
	v_mov_b32_e32 v9, s3
	v_add_co_u32_e32 v0, vcc, s2, v0
	v_addc_co_u32_e32 v1, vcc, v1, v9, vcc
	v_add_co_u32_e32 v9, vcc, 0x2000, v207
	global_load_dwordx2 v[7:8], v[7:8], off offset:1280
	v_addc_co_u32_e32 v10, vcc, 0, v208, vcc
	global_load_dwordx2 v[9:10], v[9:10], off offset:2784
	s_waitcnt vmcnt(1)
	v_mul_f32_e32 v11, v6, v8
	global_load_dwordx2 v[0:1], v[0:1], off
	v_mul_f32_e32 v8, v5, v8
	v_fmac_f32_e32 v11, v5, v7
	v_fma_f32 v12, v6, v7, -v8
	ds_write_b64 v209, v[11:12] offset:5376
	s_waitcnt vmcnt(0)
	v_mul_f32_e32 v5, v1, v10
	v_mul_f32_e32 v6, v0, v10
	v_fmac_f32_e32 v5, v0, v9
	v_fma_f32 v6, v1, v9, -v6
	ds_write_b64 v209, v[5:6] offset:10976
.LBB0_3:
	s_or_b64 exec, exec, s[14:15]
	s_waitcnt lgkmcnt(0)
	; wave barrier
	s_waitcnt lgkmcnt(0)
	ds_read2_b64 v[32:35], v209 offset1:56
	ds_read2_b64 v[44:47], v17 offset0:188 offset1:244
	ds_read2_b64 v[24:27], v209 offset0:112 offset1:168
	ds_read2_b64 v[40:43], v2 offset0:44 offset1:100
	ds_read2_b64 v[12:15], v3 offset0:96 offset1:152
	ds_read2_b64 v[36:39], v2 offset0:156 offset1:212
	ds_read2_b64 v[8:11], v4 offset0:80 offset1:136
	ds_read2_b64 v[28:31], v16 offset0:12 offset1:68
	ds_read2_b64 v[4:7], v4 offset0:192 offset1:248
	ds_read2_b64 v[20:23], v16 offset0:124 offset1:180
	ds_read2_b64 v[0:3], v17 offset0:48 offset1:104
	v_add_u32_e32 v16, 0x2400, v209
	ds_read2_b64 v[16:19], v16 offset0:108 offset1:164
                                        ; implicit-def: $vgpr50
                                        ; implicit-def: $vgpr48
	s_and_saveexec_b64 s[2:3], s[0:1]
	s_cbranch_execz .LBB0_5
; %bb.4:
	ds_read_b64 v[48:49], v209 offset:5376
	ds_read_b64 v[50:51], v209 offset:10976
.LBB0_5:
	s_or_b64 exec, exec, s[2:3]
	s_waitcnt lgkmcnt(10)
	v_sub_f32_e32 v46, v34, v46
	s_waitcnt lgkmcnt(8)
	v_sub_f32_e32 v42, v26, v42
	;; [unrolled: 2-line block ×6, first 2 shown]
	v_sub_f32_e32 v59, v32, v44
	v_sub_f32_e32 v60, v33, v45
	v_fma_f32 v44, v34, 2.0, -v46
	v_sub_f32_e32 v34, v24, v40
	v_fma_f32 v40, v26, 2.0, -v42
	v_sub_f32_e32 v26, v12, v36
	v_fma_f32 v36, v14, 2.0, -v38
	v_sub_f32_e32 v14, v8, v28
	v_fma_f32 v28, v10, 2.0, -v30
	v_sub_f32_e32 v10, v4, v20
	v_fma_f32 v20, v6, 2.0, -v22
	v_sub_f32_e32 v6, v0, v16
	v_fma_f32 v16, v2, 2.0, -v18
	v_sub_f32_e32 v2, v48, v50
	v_add_co_u32_e32 v131, vcc, 56, v211
	v_fma_f32 v57, v32, 2.0, -v59
	v_fma_f32 v58, v33, 2.0, -v60
	v_sub_f32_e32 v47, v35, v47
	v_fma_f32 v32, v24, 2.0, -v34
	v_fma_f32 v24, v12, 2.0, -v26
	;; [unrolled: 1-line block ×6, first 2 shown]
	v_lshlrev_b32_e32 v48, 4, v211
	v_add_co_u32_e32 v130, vcc, 0x70, v211
	v_fma_f32 v45, v35, 2.0, -v47
	v_sub_f32_e32 v35, v25, v41
	s_waitcnt lgkmcnt(0)
	; wave barrier
	ds_write_b128 v48, v[57:60]
	v_lshlrev_b32_e32 v48, 4, v131
	v_add_co_u32_e32 v129, vcc, 0xa8, v211
	s_movk_i32 s2, 0xe0
	v_fma_f32 v33, v25, 2.0, -v35
	v_sub_f32_e32 v43, v27, v43
	ds_write_b128 v48, v[44:47]
	v_lshlrev_b32_e32 v44, 4, v130
	s_load_dwordx2 s[4:5], s[4:5], 0x8
	v_add_co_u32_e32 v128, vcc, s2, v211
	v_fma_f32 v41, v27, 2.0, -v43
	v_sub_f32_e32 v27, v13, v37
	v_sub_f32_e32 v39, v15, v39
	ds_write_b128 v44, v[32:35]
	v_lshlrev_b32_e32 v32, 4, v129
	v_lshlrev_b32_e32 v52, 1, v211
	v_fma_f32 v25, v13, 2.0, -v27
	v_fma_f32 v37, v15, 2.0, -v39
	v_sub_f32_e32 v15, v9, v29
	v_sub_f32_e32 v31, v11, v31
	;; [unrolled: 1-line block ×3, first 2 shown]
	buffer_store_dword v32, off, s[20:23], 0 offset:12 ; 4-byte Folded Spill
	ds_write_b128 v32, v[40:43]
	v_lshlrev_b32_e32 v32, 4, v128
	s_movk_i32 s2, 0x2a0
	v_fma_f32 v13, v9, 2.0, -v15
	v_fma_f32 v29, v11, 2.0, -v31
	v_sub_f32_e32 v11, v5, v21
	v_fma_f32 v21, v7, 2.0, -v23
	v_sub_f32_e32 v7, v1, v17
	v_sub_f32_e32 v19, v3, v19
	ds_write_b128 v32, v[24:27]
	v_lshlrev_b32_e32 v24, 3, v52
	v_add_co_u32_e32 v56, vcc, s2, v211
	v_fma_f32 v9, v5, 2.0, -v11
	v_fma_f32 v5, v1, 2.0, -v7
	v_fma_f32 v17, v3, 2.0, -v19
	v_sub_f32_e32 v3, v49, v51
	ds_write_b128 v24, v[12:15] offset:5376
	v_lshlrev_b32_e32 v12, 4, v210
	v_fma_f32 v1, v49, 2.0, -v3
	v_lshlrev_b32_e32 v59, 1, v131
	v_lshlrev_b32_e32 v55, 1, v130
	;; [unrolled: 1-line block ×4, first 2 shown]
	v_add_u32_e32 v126, 0x230, v52
	ds_write_b128 v24, v[36:39] offset:4480
	v_add_u32_e32 v127, 0x2a0, v52
	v_add_u32_e32 v233, 0x310, v52
	ds_write_b128 v24, v[28:31] offset:6272
	v_lshlrev_b32_e32 v53, 1, v210
	ds_write_b128 v12, v[8:11]
	v_add_u32_e32 v239, 0x3f0, v52
	v_add_u32_e32 v242, 0x460, v52
	ds_write_b128 v24, v[4:7] offset:8960
	v_add_u32_e32 v245, 0x4d0, v52
	v_lshlrev_b32_e32 v4, 4, v56
	buffer_store_dword v48, off, s[20:23], 0 offset:4 ; 4-byte Folded Spill
	buffer_store_dword v44, off, s[20:23], 0 offset:8 ; 4-byte Folded Spill
	;; [unrolled: 1-line block ×3, first 2 shown]
	ds_write_b128 v24, v[20:23] offset:8064
	ds_write_b128 v24, v[16:19] offset:9856
	buffer_store_dword v4, off, s[20:23], 0 offset:100 ; 4-byte Folded Spill
	s_and_saveexec_b64 s[2:3], s[0:1]
	s_cbranch_execz .LBB0_7
; %bb.6:
	v_lshlrev_b32_e32 v4, 4, v56
	ds_write_b128 v4, v[0:3]
.LBB0_7:
	s_or_b64 exec, exec, s[2:3]
	v_add_u32_e32 v16, 0x1000, v209
	v_add_u32_e32 v17, 0x1800, v209
	;; [unrolled: 1-line block ×3, first 2 shown]
	s_waitcnt lgkmcnt(0)
	; wave barrier
	s_waitcnt lgkmcnt(0)
	ds_read2_b64 v[4:7], v209 offset1:56
	ds_read2_b64 v[28:31], v16 offset0:188 offset1:244
	ds_read2_b64 v[8:11], v209 offset0:112 offset1:168
	;; [unrolled: 1-line block ×5, first 2 shown]
	v_add_u32_e32 v17, 0x800, v209
	v_add_u32_e32 v18, 0x2000, v209
	ds_read2_b64 v[24:27], v17 offset0:80 offset1:136
	ds_read2_b64 v[40:43], v18 offset0:12 offset1:68
	;; [unrolled: 1-line block ×5, first 2 shown]
	v_add_u32_e32 v48, 0x2400, v209
	ds_read2_b64 v[48:51], v48 offset0:108 offset1:164
	s_and_saveexec_b64 s[2:3], s[0:1]
	s_cbranch_execz .LBB0_9
; %bb.8:
	ds_read_b64 v[0:1], v209 offset:5376
	ds_read_b64 v[2:3], v209 offset:10976
.LBB0_9:
	s_or_b64 exec, exec, s[2:3]
	v_and_b32_e32 v214, 1, v211
	v_lshlrev_b32_e32 v57, 3, v214
	global_load_dwordx2 v[201:202], v57, s[4:5]
	s_movk_i32 s2, 0x7c
	s_waitcnt lgkmcnt(0)
	; wave barrier
	s_waitcnt lgkmcnt(0)
	s_movk_i32 s3, 0x2fc
	s_waitcnt vmcnt(0)
	v_mul_f32_e32 v80, v48, v202
	v_mul_f32_e32 v83, v3, v202
	;; [unrolled: 1-line block ×15, first 2 shown]
	v_fmac_f32_e32 v80, v49, v201
	v_fma_f32 v49, v2, v201, -v83
	v_mul_f32_e32 v62, v30, v202
	v_mul_f32_e32 v64, v32, v202
	;; [unrolled: 1-line block ×11, first 2 shown]
	v_fma_f32 v28, v28, v201, -v57
	v_fmac_f32_e32 v60, v29, v201
	v_fma_f32 v29, v30, v201, -v61
	v_fma_f32 v30, v32, v201, -v63
	;; [unrolled: 1-line block ×11, first 2 shown]
	v_sub_f32_e32 v50, v0, v49
	v_fmac_f32_e32 v84, v3, v201
	v_sub_f32_e32 v2, v4, v28
	v_sub_f32_e32 v3, v5, v60
	;; [unrolled: 1-line block ×3, first 2 shown]
	v_fma_f32 v48, v0, 2.0, -v50
	v_and_or_b32 v0, v52, s2, v214
	v_fmac_f32_e32 v62, v31, v201
	v_fma_f32 v4, v4, 2.0, -v2
	v_fma_f32 v5, v5, 2.0, -v3
	v_lshlrev_b32_e32 v0, 3, v0
	s_movk_i32 s2, 0xfc
	v_sub_f32_e32 v28, v6, v29
	v_sub_f32_e32 v29, v7, v62
	buffer_store_dword v0, off, s[20:23], 0 offset:20 ; 4-byte Folded Spill
	ds_write2_b64 v0, v[4:5], v[2:3] offset1:2
	v_and_or_b32 v0, v59, s2, v214
	v_fmac_f32_e32 v64, v33, v201
	v_fma_f32 v6, v6, 2.0, -v28
	v_fma_f32 v7, v7, 2.0, -v29
	v_lshlrev_b32_e32 v0, 3, v0
	s_movk_i32 s2, 0x1fc
	v_sub_f32_e32 v30, v8, v30
	v_sub_f32_e32 v31, v9, v64
	buffer_store_dword v0, off, s[20:23], 0 offset:24 ; 4-byte Folded Spill
	ds_write2_b64 v0, v[6:7], v[28:29] offset1:2
	v_and_or_b32 v0, v55, s2, v214
	v_fmac_f32_e32 v66, v35, v201
	v_fma_f32 v8, v8, 2.0, -v30
	v_fma_f32 v9, v9, 2.0, -v31
	v_lshlrev_b32_e32 v0, 3, v0
	v_sub_f32_e32 v32, v10, v32
	v_sub_f32_e32 v33, v11, v66
	buffer_store_dword v0, off, s[20:23], 0 offset:28 ; 4-byte Folded Spill
	ds_write2_b64 v0, v[8:9], v[30:31] offset1:2
	v_and_or_b32 v0, v58, s2, v214
	v_fmac_f32_e32 v68, v37, v201
	v_fma_f32 v10, v10, 2.0, -v32
	v_fma_f32 v11, v11, 2.0, -v33
	v_lshlrev_b32_e32 v0, 3, v0
	s_movk_i32 s2, 0x3fc
	v_sub_f32_e32 v34, v12, v34
	v_sub_f32_e32 v35, v13, v68
	buffer_store_dword v0, off, s[20:23], 0 offset:32 ; 4-byte Folded Spill
	ds_write2_b64 v0, v[10:11], v[32:33] offset1:2
	v_and_or_b32 v0, v54, s2, v214
	v_fmac_f32_e32 v70, v39, v201
	v_fma_f32 v12, v12, 2.0, -v34
	v_fma_f32 v13, v13, 2.0, -v35
	v_lshlrev_b32_e32 v0, 3, v0
	v_sub_f32_e32 v36, v14, v36
	v_sub_f32_e32 v37, v15, v70
	buffer_store_dword v0, off, s[20:23], 0 offset:36 ; 4-byte Folded Spill
	ds_write2_b64 v0, v[12:13], v[34:35] offset1:2
	v_and_or_b32 v0, v126, s3, v214
	v_fmac_f32_e32 v72, v41, v201
	v_fma_f32 v14, v14, 2.0, -v36
	v_fma_f32 v15, v15, 2.0, -v37
	v_lshlrev_b32_e32 v0, 3, v0
	;; [unrolled: 9-line block ×5, first 2 shown]
	s_movk_i32 s2, 0x7fc
	v_sub_f32_e32 v44, v22, v44
	v_sub_f32_e32 v45, v23, v78
	buffer_store_dword v0, off, s[20:23], 0 offset:52 ; 4-byte Folded Spill
	ds_write2_b64 v0, v[20:21], v[42:43] offset1:2
	v_and_or_b32 v0, v239, s2, v214
	v_fma_f32 v22, v22, 2.0, -v44
	v_fma_f32 v23, v23, 2.0, -v45
	v_lshlrev_b32_e32 v0, 3, v0
	s_movk_i32 s2, 0x4fc
	v_sub_f32_e32 v46, v16, v46
	v_sub_f32_e32 v47, v17, v80
	buffer_store_dword v0, off, s[20:23], 0 offset:56 ; 4-byte Folded Spill
	ds_write2_b64 v0, v[22:23], v[44:45] offset1:2
	v_and_or_b32 v0, v242, s2, v214
	v_fmac_f32_e32 v82, v51, v201
	v_fma_f32 v16, v16, 2.0, -v46
	v_fma_f32 v17, v17, 2.0, -v47
	v_lshlrev_b32_e32 v0, 3, v0
	s_movk_i32 s2, 0x5fc
	v_sub_f32_e32 v61, v19, v82
	buffer_store_dword v0, off, s[20:23], 0 offset:60 ; 4-byte Folded Spill
	ds_write2_b64 v0, v[16:17], v[46:47] offset1:2
	v_and_or_b32 v0, v245, s2, v214
	v_fma_f32 v18, v18, 2.0, -v60
	v_fma_f32 v19, v19, 2.0, -v61
	v_sub_f32_e32 v51, v1, v84
	v_lshlrev_b32_e32 v0, 3, v0
	v_fma_f32 v49, v1, 2.0, -v51
	buffer_store_dword v0, off, s[20:23], 0 offset:64 ; 4-byte Folded Spill
	ds_write2_b64 v0, v[18:19], v[60:61] offset1:2
	v_lshlrev_b32_e32 v0, 1, v56
	buffer_store_dword v0, off, s[20:23], 0 ; 4-byte Folded Spill
	s_and_saveexec_b64 s[2:3], s[0:1]
	s_cbranch_execz .LBB0_11
; %bb.10:
	buffer_load_dword v0, off, s[20:23], 0  ; 4-byte Folded Reload
	s_movk_i32 s14, 0x57c
	s_waitcnt vmcnt(0)
	v_and_or_b32 v0, v0, s14, v214
	v_lshlrev_b32_e32 v0, 3, v0
	ds_write2_b64 v0, v[48:49], v[50:51] offset1:2
.LBB0_11:
	s_or_b64 exec, exec, s[2:3]
	v_add_u32_e32 v12, 0x1000, v209
	v_add_u32_e32 v13, 0x1800, v209
	;; [unrolled: 1-line block ×3, first 2 shown]
	s_waitcnt lgkmcnt(0)
	; wave barrier
	s_waitcnt lgkmcnt(0)
	ds_read2_b64 v[0:3], v209 offset1:56
	ds_read2_b64 v[24:27], v12 offset0:188 offset1:244
	ds_read2_b64 v[4:7], v209 offset0:112 offset1:168
	;; [unrolled: 1-line block ×5, first 2 shown]
	v_add_u32_e32 v13, 0x800, v209
	v_add_u32_e32 v14, 0x2000, v209
	ds_read2_b64 v[20:23], v13 offset0:80 offset1:136
	ds_read2_b64 v[36:39], v14 offset0:12 offset1:68
	;; [unrolled: 1-line block ×5, first 2 shown]
	v_add_u32_e32 v44, 0x2400, v209
	ds_read2_b64 v[44:47], v44 offset0:108 offset1:164
	s_and_saveexec_b64 s[2:3], s[0:1]
	s_cbranch_execz .LBB0_13
; %bb.12:
	ds_read_b64 v[48:49], v209 offset:5376
	ds_read_b64 v[50:51], v209 offset:10976
.LBB0_13:
	s_or_b64 exec, exec, s[2:3]
	v_and_b32_e32 v215, 3, v211
	v_lshlrev_b32_e32 v56, 3, v215
	global_load_dwordx2 v[203:204], v56, s[4:5] offset:16
	s_movk_i32 s2, 0x78
	s_waitcnt lgkmcnt(0)
	; wave barrier
	s_waitcnt lgkmcnt(0)
	s_movk_i32 s3, 0x2f8
	s_waitcnt vmcnt(0)
	v_mul_f32_e32 v56, v25, v204
	v_mul_f32_e32 v57, v24, v204
	;; [unrolled: 1-line block ×4, first 2 shown]
	v_fma_f32 v24, v24, v203, -v56
	v_fmac_f32_e32 v57, v25, v203
	v_fma_f32 v50, v50, v203, -v82
	v_mul_f32_e32 v60, v27, v204
	v_mul_f32_e32 v61, v26, v204
	v_sub_f32_e32 v24, v0, v24
	v_sub_f32_e32 v25, v1, v57
	;; [unrolled: 1-line block ×3, first 2 shown]
	v_and_or_b32 v50, v52, s2, v215
	v_fma_f32 v26, v26, v203, -v60
	v_fmac_f32_e32 v61, v27, v203
	v_fma_f32 v0, v0, 2.0, -v24
	v_fma_f32 v1, v1, 2.0, -v25
	v_lshlrev_b32_e32 v50, 3, v50
	s_movk_i32 s2, 0xf8
	v_mul_f32_e32 v62, v29, v204
	v_mul_f32_e32 v63, v28, v204
	v_sub_f32_e32 v26, v2, v26
	v_sub_f32_e32 v27, v3, v61
	ds_write2_b64 v50, v[0:1], v[24:25] offset1:4
	v_and_or_b32 v0, v59, s2, v215
	v_fma_f32 v28, v28, v203, -v62
	v_fmac_f32_e32 v63, v29, v203
	v_fma_f32 v2, v2, 2.0, -v26
	v_fma_f32 v3, v3, 2.0, -v27
	v_lshlrev_b32_e32 v0, 3, v0
	s_movk_i32 s2, 0x1f8
	v_mul_f32_e32 v64, v31, v204
	v_mul_f32_e32 v65, v30, v204
	v_sub_f32_e32 v28, v4, v28
	v_sub_f32_e32 v29, v5, v63
	buffer_store_dword v0, off, s[20:23], 0 offset:72 ; 4-byte Folded Spill
	ds_write2_b64 v0, v[2:3], v[26:27] offset1:4
	v_and_or_b32 v0, v55, s2, v215
	v_fma_f32 v30, v30, v203, -v64
	v_fmac_f32_e32 v65, v31, v203
	v_fma_f32 v4, v4, 2.0, -v28
	v_fma_f32 v5, v5, 2.0, -v29
	v_lshlrev_b32_e32 v0, 3, v0
	v_mul_f32_e32 v66, v33, v204
	v_mul_f32_e32 v67, v32, v204
	v_sub_f32_e32 v30, v6, v30
	v_sub_f32_e32 v31, v7, v65
	buffer_store_dword v0, off, s[20:23], 0 offset:76 ; 4-byte Folded Spill
	ds_write2_b64 v0, v[4:5], v[28:29] offset1:4
	v_and_or_b32 v0, v58, s2, v215
	v_fma_f32 v32, v32, v203, -v66
	v_fmac_f32_e32 v67, v33, v203
	v_fma_f32 v6, v6, 2.0, -v30
	v_fma_f32 v7, v7, 2.0, -v31
	v_lshlrev_b32_e32 v0, 3, v0
	s_movk_i32 s2, 0x3f8
	v_mul_f32_e32 v68, v35, v204
	v_mul_f32_e32 v69, v34, v204
	v_sub_f32_e32 v32, v8, v32
	v_sub_f32_e32 v33, v9, v67
	buffer_store_dword v0, off, s[20:23], 0 offset:80 ; 4-byte Folded Spill
	ds_write2_b64 v0, v[6:7], v[30:31] offset1:4
	v_and_or_b32 v0, v54, s2, v215
	v_fma_f32 v34, v34, v203, -v68
	v_fmac_f32_e32 v69, v35, v203
	v_fma_f32 v8, v8, 2.0, -v32
	v_fma_f32 v9, v9, 2.0, -v33
	v_lshlrev_b32_e32 v0, 3, v0
	v_mul_f32_e32 v70, v37, v204
	v_mul_f32_e32 v71, v36, v204
	v_sub_f32_e32 v34, v10, v34
	v_sub_f32_e32 v35, v11, v69
	buffer_store_dword v0, off, s[20:23], 0 offset:84 ; 4-byte Folded Spill
	ds_write2_b64 v0, v[8:9], v[32:33] offset1:4
	v_and_or_b32 v0, v126, s3, v215
	v_fma_f32 v36, v36, v203, -v70
	v_fmac_f32_e32 v71, v37, v203
	v_fma_f32 v10, v10, 2.0, -v34
	v_fma_f32 v11, v11, 2.0, -v35
	v_lshlrev_b32_e32 v0, 3, v0
	v_sub_f32_e32 v36, v20, v36
	v_sub_f32_e32 v37, v21, v71
	buffer_store_dword v0, off, s[20:23], 0 offset:88 ; 4-byte Folded Spill
	ds_write2_b64 v0, v[10:11], v[34:35] offset1:4
	v_and_or_b32 v0, v127, s2, v215
	v_fma_f32 v20, v20, 2.0, -v36
	v_fma_f32 v21, v21, 2.0, -v37
	v_lshlrev_b32_e32 v0, 3, v0
	buffer_store_dword v0, off, s[20:23], 0 offset:92 ; 4-byte Folded Spill
	ds_write2_b64 v0, v[20:21], v[36:37] offset1:4
	v_and_or_b32 v0, v233, s2, v215
	v_lshlrev_b32_e32 v243, 3, v0
	v_and_or_b32 v0, v53, s2, v215
	s_movk_i32 s2, 0x7f8
	v_mul_f32_e32 v72, v39, v204
	v_mul_f32_e32 v73, v38, v204
	;; [unrolled: 1-line block ×10, first 2 shown]
	v_lshlrev_b32_e32 v244, 3, v0
	v_and_or_b32 v0, v239, s2, v215
	s_movk_i32 s2, 0x4f8
	v_fma_f32 v38, v38, v203, -v72
	v_fmac_f32_e32 v73, v39, v203
	v_fma_f32 v40, v40, v203, -v74
	v_fmac_f32_e32 v75, v41, v203
	;; [unrolled: 2-line block ×5, first 2 shown]
	v_lshlrev_b32_e32 v246, 3, v0
	v_and_or_b32 v0, v242, s2, v215
	s_movk_i32 s2, 0x5f8
	v_fmac_f32_e32 v83, v51, v203
	v_sub_f32_e32 v38, v22, v38
	v_sub_f32_e32 v39, v23, v73
	v_sub_f32_e32 v40, v16, v40
	v_sub_f32_e32 v41, v17, v75
	v_sub_f32_e32 v42, v18, v42
	v_sub_f32_e32 v43, v19, v77
	v_sub_f32_e32 v44, v12, v44
	v_sub_f32_e32 v45, v13, v79
	v_sub_f32_e32 v46, v14, v46
	v_sub_f32_e32 v47, v15, v81
	v_lshlrev_b32_e32 v247, 3, v0
	v_and_or_b32 v0, v245, s2, v215
	v_fma_f32 v22, v22, 2.0, -v38
	v_fma_f32 v23, v23, 2.0, -v39
	;; [unrolled: 1-line block ×10, first 2 shown]
	v_sub_f32_e32 v57, v49, v83
	v_lshlrev_b32_e32 v248, 3, v0
	buffer_store_dword v50, off, s[20:23], 0 offset:68 ; 4-byte Folded Spill
	ds_write2_b64 v243, v[22:23], v[38:39] offset1:4
	ds_write2_b64 v244, v[16:17], v[40:41] offset1:4
	;; [unrolled: 1-line block ×5, first 2 shown]
	s_and_saveexec_b64 s[2:3], s[0:1]
	s_cbranch_execz .LBB0_15
; %bb.14:
	buffer_load_dword v2, off, s[20:23], 0  ; 4-byte Folded Reload
	s_movk_i32 s14, 0x578
	v_fma_f32 v1, v49, 2.0, -v57
	v_fma_f32 v0, v48, 2.0, -v56
	s_waitcnt vmcnt(0)
	v_and_or_b32 v2, v2, s14, v215
	v_lshlrev_b32_e32 v2, 3, v2
	ds_write2_b64 v2, v[0:1], v[56:57] offset1:4
.LBB0_15:
	s_or_b64 exec, exec, s[2:3]
	v_and_b32_e32 v21, 7, v211
	v_lshlrev_b32_e32 v0, 5, v21
	s_waitcnt lgkmcnt(0)
	; wave barrier
	s_waitcnt lgkmcnt(0)
	global_load_dwordx4 v[16:19], v0, s[4:5] offset:48
	global_load_dwordx4 v[12:15], v0, s[4:5] offset:64
	v_add_u32_e32 v46, 0x2400, v209
	ds_read2_b64 v[4:7], v209 offset1:56
	v_add_u32_e32 v8, 0x400, v209
	v_add_u32_e32 v10, 0x1000, v209
	;; [unrolled: 1-line block ×5, first 2 shown]
	ds_read2_b64 v[0:3], v209 offset0:112 offset1:168
	v_add_u32_e32 v58, 0x1c00, v209
	ds_read_b64 v[54:55], v209 offset:10752
	ds_read2_b64 v[60:63], v8 offset0:96 offset1:152
	ds_read2_b64 v[22:25], v10 offset0:48 offset1:104
	;; [unrolled: 1-line block ×10, first 2 shown]
	s_waitcnt lgkmcnt(0)
	; wave barrier
	s_waitcnt lgkmcnt(0)
	v_cmp_gt_u16_e64 s[2:3], 32, v211
                                        ; implicit-def: $vgpr108
	s_waitcnt vmcnt(1)
	v_mul_f32_e32 v58, v63, v17
	v_mul_f32_e32 v59, v62, v17
	;; [unrolled: 1-line block ×3, first 2 shown]
	s_waitcnt vmcnt(0)
	v_mul_f32_e32 v70, v29, v13
	v_mul_f32_e32 v69, v22, v19
	;; [unrolled: 1-line block ×3, first 2 shown]
	v_fma_f32 v58, v62, v16, -v58
	v_fmac_f32_e32 v59, v63, v16
	v_fma_f32 v62, v22, v18, -v68
	v_fma_f32 v63, v28, v12, -v70
	v_mul_f32_e32 v22, v49, v15
	v_mul_f32_e32 v73, v30, v15
	;; [unrolled: 1-line block ×6, first 2 shown]
	v_fmac_f32_e32 v69, v23, v18
	v_fmac_f32_e32 v91, v51, v16
	v_fma_f32 v51, v48, v14, -v22
	v_mul_f32_e32 v22, v53, v17
	v_add_f32_e32 v23, v62, v63
	v_mul_f32_e32 v71, v28, v13
	v_mul_f32_e32 v72, v31, v15
	;; [unrolled: 1-line block ×6, first 2 shown]
	v_fmac_f32_e32 v73, v31, v14
	v_fma_f32 v68, v34, v16, -v74
	v_fma_f32 v70, v24, v18, -v76
	;; [unrolled: 1-line block ×4, first 2 shown]
	v_mul_f32_e32 v22, v27, v19
	v_fma_f32 v24, -0.5, v23, v4
	v_mul_f32_e32 v79, v38, v13
	v_fmac_f32_e32 v71, v29, v12
	v_fma_f32 v29, v30, v14, -v72
	v_fma_f32 v38, v38, v12, -v78
	v_fmac_f32_e32 v85, v43, v18
	v_fma_f32 v43, v46, v14, -v88
	v_fma_f32 v78, v50, v16, -v90
	;; [unrolled: 1-line block ×3, first 2 shown]
	v_mul_f32_e32 v90, v26, v19
	v_sub_f32_e32 v23, v59, v73
	v_mov_b32_e32 v26, v24
	v_fmac_f32_e32 v77, v25, v18
	v_fmac_f32_e32 v90, v27, v18
	;; [unrolled: 1-line block ×3, first 2 shown]
	v_sub_f32_e32 v25, v69, v71
	v_sub_f32_e32 v27, v58, v62
	;; [unrolled: 1-line block ×3, first 2 shown]
	v_fmac_f32_e32 v24, 0xbf737871, v23
	v_mul_f32_e32 v75, v34, v17
	v_mul_f32_e32 v80, v33, v15
	v_mul_f32_e32 v82, v37, v17
	v_mul_f32_e32 v92, v45, v19
	v_mul_f32_e32 v94, v65, v13
	v_mul_f32_e32 v22, v67, v13
	v_fmac_f32_e32 v26, 0x3f167918, v25
	v_add_f32_e32 v27, v27, v28
	v_fmac_f32_e32 v24, 0xbf167918, v25
	v_fmac_f32_e32 v75, v35, v16
	v_fma_f32 v35, v32, v14, -v80
	v_fma_f32 v72, v36, v16, -v82
	;; [unrolled: 1-line block ×5, first 2 shown]
	v_mul_f32_e32 v94, v66, v13
	v_mul_f32_e32 v22, v55, v15
	v_fmac_f32_e32 v26, 0x3e9e377a, v27
	v_fmac_f32_e32 v24, 0x3e9e377a, v27
	v_add_f32_e32 v27, v58, v29
	v_fmac_f32_e32 v94, v67, v12
	v_fma_f32 v67, v54, v14, -v22
	v_add_f32_e32 v22, v4, v58
	v_fma_f32 v4, -0.5, v27, v4
	v_mov_b32_e32 v28, v4
	v_fmac_f32_e32 v28, 0xbf737871, v25
	v_sub_f32_e32 v27, v62, v58
	v_sub_f32_e32 v30, v63, v29
	v_fmac_f32_e32 v4, 0x3f737871, v25
	v_add_f32_e32 v25, v69, v71
	v_add_f32_e32 v22, v22, v62
	v_fmac_f32_e32 v28, 0x3f167918, v23
	v_add_f32_e32 v27, v27, v30
	v_fmac_f32_e32 v4, 0xbf167918, v23
	v_fma_f32 v25, -0.5, v25, v5
	v_add_f32_e32 v22, v22, v63
	v_fmac_f32_e32 v28, 0x3e9e377a, v27
	v_fmac_f32_e32 v4, 0x3e9e377a, v27
	v_sub_f32_e32 v30, v58, v29
	v_mov_b32_e32 v27, v25
	v_mul_f32_e32 v81, v32, v15
	v_add_f32_e32 v22, v22, v29
	v_fmac_f32_e32 v27, 0xbf737871, v30
	v_sub_f32_e32 v31, v62, v63
	v_sub_f32_e32 v29, v59, v69
	;; [unrolled: 1-line block ×3, first 2 shown]
	v_fmac_f32_e32 v25, 0x3f737871, v30
	v_fmac_f32_e32 v27, 0xbf167918, v31
	v_add_f32_e32 v29, v29, v32
	v_fmac_f32_e32 v25, 0x3f167918, v31
	v_fmac_f32_e32 v27, 0x3e9e377a, v29
	v_fmac_f32_e32 v25, 0x3e9e377a, v29
	v_add_f32_e32 v29, v59, v73
	v_add_f32_e32 v23, v5, v59
	v_fma_f32 v5, -0.5, v29, v5
	v_mov_b32_e32 v29, v5
	v_fmac_f32_e32 v81, v33, v14
	v_fmac_f32_e32 v29, 0x3f737871, v31
	v_sub_f32_e32 v32, v69, v59
	v_sub_f32_e32 v33, v71, v73
	v_fmac_f32_e32 v5, 0xbf737871, v31
	v_fmac_f32_e32 v29, 0xbf167918, v30
	v_add_f32_e32 v32, v32, v33
	v_fmac_f32_e32 v5, 0x3f167918, v30
	v_add_f32_e32 v31, v70, v38
	v_fmac_f32_e32 v29, 0x3e9e377a, v32
	v_fmac_f32_e32 v5, 0x3e9e377a, v32
	v_fma_f32 v32, -0.5, v31, v6
	v_mul_f32_e32 v83, v36, v17
	v_fmac_f32_e32 v79, v39, v12
	v_sub_f32_e32 v31, v75, v81
	v_mov_b32_e32 v34, v32
	v_fmac_f32_e32 v83, v37, v16
	v_fmac_f32_e32 v34, 0x3f737871, v31
	v_sub_f32_e32 v33, v77, v79
	v_sub_f32_e32 v36, v68, v70
	;; [unrolled: 1-line block ×3, first 2 shown]
	v_fmac_f32_e32 v32, 0xbf737871, v31
	v_fmac_f32_e32 v34, 0x3f167918, v33
	v_add_f32_e32 v36, v36, v37
	v_fmac_f32_e32 v32, 0xbf167918, v33
	v_fmac_f32_e32 v34, 0x3e9e377a, v36
	;; [unrolled: 1-line block ×3, first 2 shown]
	v_add_f32_e32 v36, v68, v35
	v_add_f32_e32 v30, v6, v68
	v_fma_f32 v6, -0.5, v36, v6
	v_mov_b32_e32 v36, v6
	v_add_f32_e32 v30, v30, v70
	v_fmac_f32_e32 v36, 0xbf737871, v33
	v_fmac_f32_e32 v6, 0x3f737871, v33
	v_add_f32_e32 v33, v77, v79
	v_add_f32_e32 v30, v30, v38
	v_sub_f32_e32 v37, v70, v68
	v_sub_f32_e32 v39, v38, v35
	v_fma_f32 v33, -0.5, v33, v7
	v_mul_f32_e32 v86, v41, v13
	v_add_f32_e32 v30, v30, v35
	v_fmac_f32_e32 v36, 0x3f167918, v31
	v_add_f32_e32 v37, v37, v39
	v_fmac_f32_e32 v6, 0xbf167918, v31
	v_sub_f32_e32 v39, v68, v35
	v_mov_b32_e32 v35, v33
	v_mul_f32_e32 v87, v40, v13
	v_fma_f32 v76, v40, v12, -v86
	v_fmac_f32_e32 v36, 0x3e9e377a, v37
	v_fmac_f32_e32 v6, 0x3e9e377a, v37
	;; [unrolled: 1-line block ×3, first 2 shown]
	v_sub_f32_e32 v38, v70, v38
	v_sub_f32_e32 v37, v75, v77
	;; [unrolled: 1-line block ×3, first 2 shown]
	v_fmac_f32_e32 v33, 0x3f737871, v39
	v_fmac_f32_e32 v35, 0xbf167918, v38
	v_add_f32_e32 v37, v37, v40
	v_fmac_f32_e32 v33, 0x3f167918, v38
	v_fmac_f32_e32 v35, 0x3e9e377a, v37
	v_fmac_f32_e32 v33, 0x3e9e377a, v37
	v_add_f32_e32 v37, v75, v81
	v_add_f32_e32 v31, v7, v75
	v_fmac_f32_e32 v7, -0.5, v37
	v_mov_b32_e32 v37, v7
	v_fmac_f32_e32 v87, v41, v12
	v_fmac_f32_e32 v37, 0x3f737871, v38
	v_sub_f32_e32 v40, v77, v75
	v_sub_f32_e32 v41, v79, v81
	v_fmac_f32_e32 v7, 0xbf737871, v38
	v_mul_f32_e32 v89, v46, v15
	v_fmac_f32_e32 v37, 0xbf167918, v39
	v_add_f32_e32 v40, v40, v41
	v_fmac_f32_e32 v7, 0x3f167918, v39
	v_add_f32_e32 v39, v74, v76
	v_fmac_f32_e32 v89, v47, v14
	v_fmac_f32_e32 v37, 0x3e9e377a, v40
	;; [unrolled: 1-line block ×3, first 2 shown]
	v_fma_f32 v40, -0.5, v39, v0
	v_mul_f32_e32 v93, v44, v19
	v_sub_f32_e32 v39, v83, v89
	v_mov_b32_e32 v42, v40
	v_fmac_f32_e32 v93, v45, v18
	v_fmac_f32_e32 v42, 0x3f737871, v39
	v_sub_f32_e32 v41, v85, v87
	v_sub_f32_e32 v44, v72, v74
	;; [unrolled: 1-line block ×3, first 2 shown]
	v_fmac_f32_e32 v40, 0xbf737871, v39
	v_fmac_f32_e32 v42, 0x3f167918, v41
	v_add_f32_e32 v44, v44, v45
	v_fmac_f32_e32 v40, 0xbf167918, v41
	v_fmac_f32_e32 v42, 0x3e9e377a, v44
	v_fmac_f32_e32 v40, 0x3e9e377a, v44
	v_add_f32_e32 v44, v72, v43
	v_add_f32_e32 v38, v0, v72
	v_fma_f32 v0, -0.5, v44, v0
	v_mov_b32_e32 v44, v0
	v_add_f32_e32 v38, v38, v74
	v_fmac_f32_e32 v44, 0xbf737871, v41
	v_fmac_f32_e32 v0, 0x3f737871, v41
	v_add_f32_e32 v41, v85, v87
	v_add_f32_e32 v38, v38, v76
	v_sub_f32_e32 v45, v74, v72
	v_sub_f32_e32 v46, v76, v43
	v_fma_f32 v41, -0.5, v41, v1
	v_mul_f32_e32 v64, v64, v13
	v_add_f32_e32 v38, v38, v43
	v_fmac_f32_e32 v44, 0x3f167918, v39
	v_add_f32_e32 v45, v45, v46
	v_fmac_f32_e32 v0, 0xbf167918, v39
	v_sub_f32_e32 v46, v72, v43
	v_mov_b32_e32 v43, v41
	v_fmac_f32_e32 v64, v65, v12
	v_mul_f32_e32 v65, v48, v15
	v_fmac_f32_e32 v44, 0x3e9e377a, v45
	v_fmac_f32_e32 v0, 0x3e9e377a, v45
	;; [unrolled: 1-line block ×3, first 2 shown]
	v_sub_f32_e32 v47, v74, v76
	v_sub_f32_e32 v45, v83, v85
	;; [unrolled: 1-line block ×3, first 2 shown]
	v_fmac_f32_e32 v41, 0x3f737871, v46
	v_fmac_f32_e32 v43, 0xbf167918, v47
	v_add_f32_e32 v45, v45, v48
	v_fmac_f32_e32 v41, 0x3f167918, v47
	v_fmac_f32_e32 v43, 0x3e9e377a, v45
	;; [unrolled: 1-line block ×3, first 2 shown]
	v_add_f32_e32 v45, v83, v89
	v_add_f32_e32 v39, v1, v83
	v_fma_f32 v1, -0.5, v45, v1
	v_mov_b32_e32 v45, v1
	v_fmac_f32_e32 v65, v49, v14
	v_fmac_f32_e32 v45, 0x3f737871, v47
	v_sub_f32_e32 v48, v85, v83
	v_sub_f32_e32 v49, v87, v89
	v_fmac_f32_e32 v1, 0xbf737871, v47
	v_fmac_f32_e32 v45, 0xbf167918, v46
	v_add_f32_e32 v48, v48, v49
	v_fmac_f32_e32 v1, 0x3f167918, v46
	v_add_f32_e32 v47, v80, v82
	v_fmac_f32_e32 v45, 0x3e9e377a, v48
	v_fmac_f32_e32 v1, 0x3e9e377a, v48
	v_fma_f32 v48, -0.5, v47, v2
	v_mul_f32_e32 v86, v52, v17
	v_sub_f32_e32 v47, v91, v65
	v_mov_b32_e32 v50, v48
	v_fmac_f32_e32 v86, v53, v16
	v_fmac_f32_e32 v50, 0x3f737871, v47
	v_sub_f32_e32 v49, v93, v64
	v_sub_f32_e32 v52, v78, v80
	;; [unrolled: 1-line block ×3, first 2 shown]
	v_fmac_f32_e32 v48, 0xbf737871, v47
	v_fmac_f32_e32 v50, 0x3f167918, v49
	v_add_f32_e32 v52, v52, v53
	v_fmac_f32_e32 v48, 0xbf167918, v49
	v_fmac_f32_e32 v50, 0x3e9e377a, v52
	;; [unrolled: 1-line block ×3, first 2 shown]
	v_add_f32_e32 v52, v78, v51
	v_add_f32_e32 v46, v2, v78
	v_fma_f32 v2, -0.5, v52, v2
	v_mov_b32_e32 v52, v2
	v_add_f32_e32 v46, v46, v80
	v_fmac_f32_e32 v52, 0xbf737871, v49
	v_fmac_f32_e32 v2, 0x3f737871, v49
	v_add_f32_e32 v49, v93, v64
	v_mul_f32_e32 v95, v54, v15
	v_add_f32_e32 v46, v46, v82
	v_sub_f32_e32 v53, v80, v78
	v_sub_f32_e32 v54, v82, v51
	v_fma_f32 v49, -0.5, v49, v3
	v_add_f32_e32 v46, v46, v51
	v_fmac_f32_e32 v52, 0x3f167918, v47
	v_add_f32_e32 v53, v53, v54
	v_fmac_f32_e32 v2, 0xbf167918, v47
	v_sub_f32_e32 v54, v78, v51
	v_mov_b32_e32 v51, v49
	v_fmac_f32_e32 v95, v55, v14
	v_fmac_f32_e32 v52, 0x3e9e377a, v53
	;; [unrolled: 1-line block ×4, first 2 shown]
	v_sub_f32_e32 v55, v80, v82
	v_sub_f32_e32 v53, v91, v93
	;; [unrolled: 1-line block ×3, first 2 shown]
	v_fmac_f32_e32 v49, 0x3f737871, v54
	v_fmac_f32_e32 v51, 0xbf167918, v55
	v_add_f32_e32 v53, v53, v58
	v_fmac_f32_e32 v49, 0x3f167918, v55
	v_fmac_f32_e32 v51, 0x3e9e377a, v53
	;; [unrolled: 1-line block ×3, first 2 shown]
	v_add_f32_e32 v53, v91, v65
	v_add_f32_e32 v47, v3, v91
	v_fmac_f32_e32 v3, -0.5, v53
	v_mov_b32_e32 v53, v3
	v_fmac_f32_e32 v53, 0x3f737871, v55
	v_fmac_f32_e32 v3, 0xbf737871, v55
	v_add_f32_e32 v55, v88, v92
	v_add_f32_e32 v47, v47, v93
	v_sub_f32_e32 v58, v93, v91
	v_sub_f32_e32 v59, v64, v65
	v_fma_f32 v62, -0.5, v55, v60
	v_add_f32_e32 v47, v47, v64
	v_fmac_f32_e32 v53, 0xbf167918, v54
	v_add_f32_e32 v58, v58, v59
	v_fmac_f32_e32 v3, 0x3f167918, v54
	v_sub_f32_e32 v55, v86, v95
	v_mov_b32_e32 v64, v62
	v_fmac_f32_e32 v53, 0x3e9e377a, v58
	v_fmac_f32_e32 v3, 0x3e9e377a, v58
	v_fmac_f32_e32 v64, 0x3f737871, v55
	v_sub_f32_e32 v58, v90, v94
	v_sub_f32_e32 v59, v84, v88
	v_sub_f32_e32 v63, v67, v92
	v_fmac_f32_e32 v62, 0xbf737871, v55
	v_fmac_f32_e32 v64, 0x3f167918, v58
	v_add_f32_e32 v59, v59, v63
	v_fmac_f32_e32 v62, 0xbf167918, v58
	v_fmac_f32_e32 v64, 0x3e9e377a, v59
	;; [unrolled: 1-line block ×3, first 2 shown]
	v_add_f32_e32 v59, v84, v67
	v_add_f32_e32 v54, v60, v84
	v_fma_f32 v60, -0.5, v59, v60
	v_mov_b32_e32 v66, v60
	v_fmac_f32_e32 v66, 0xbf737871, v58
	v_sub_f32_e32 v59, v88, v84
	v_sub_f32_e32 v63, v92, v67
	v_fmac_f32_e32 v60, 0x3f737871, v58
	v_add_f32_e32 v58, v90, v94
	v_add_f32_e32 v54, v54, v88
	;; [unrolled: 1-line block ×3, first 2 shown]
	v_fma_f32 v63, -0.5, v58, v61
	v_add_f32_e32 v47, v47, v65
	v_add_f32_e32 v54, v54, v92
	v_fmac_f32_e32 v66, 0x3f167918, v55
	v_fmac_f32_e32 v60, 0xbf167918, v55
	v_sub_f32_e32 v58, v84, v67
	v_mov_b32_e32 v65, v63
	v_add_f32_e32 v54, v54, v67
	v_fmac_f32_e32 v66, 0x3e9e377a, v59
	v_fmac_f32_e32 v60, 0x3e9e377a, v59
	;; [unrolled: 1-line block ×3, first 2 shown]
	v_sub_f32_e32 v59, v88, v92
	v_sub_f32_e32 v67, v86, v90
	;; [unrolled: 1-line block ×3, first 2 shown]
	v_fmac_f32_e32 v63, 0x3f737871, v58
	v_fmac_f32_e32 v65, 0xbf167918, v59
	v_add_f32_e32 v67, v67, v68
	v_fmac_f32_e32 v63, 0x3f167918, v59
	v_fmac_f32_e32 v65, 0x3e9e377a, v67
	;; [unrolled: 1-line block ×3, first 2 shown]
	v_add_f32_e32 v67, v86, v95
	v_add_f32_e32 v55, v61, v86
	v_fmac_f32_e32 v61, -0.5, v67
	v_mov_b32_e32 v67, v61
	v_fmac_f32_e32 v67, 0x3f737871, v59
	v_fmac_f32_e32 v61, 0xbf737871, v59
	;; [unrolled: 1-line block ×4, first 2 shown]
	v_lshrrev_b32_e32 v58, 3, v211
	v_add_f32_e32 v23, v23, v69
	v_mul_u32_u24_e32 v58, 40, v58
	v_add_f32_e32 v23, v23, v71
	v_or_b32_e32 v58, v58, v21
	v_add_f32_e32 v23, v23, v73
	v_lshlrev_b32_e32 v249, 3, v58
	ds_write2_b64 v249, v[22:23], v[26:27] offset1:8
	ds_write2_b64 v249, v[28:29], v[4:5] offset0:16 offset1:24
	ds_write_b64 v249, v[24:25] offset:256
	v_lshrrev_b32_e32 v4, 3, v131
	v_mul_u32_u24_e32 v4, 40, v4
	v_or_b32_e32 v4, v4, v21
	v_lshlrev_b32_e32 v250, 3, v4
	v_lshrrev_b32_e32 v4, 3, v130
	v_add_f32_e32 v31, v31, v77
	v_add_f32_e32 v39, v39, v85
	v_mul_u32_u24_e32 v4, 40, v4
	v_add_f32_e32 v31, v31, v79
	v_add_f32_e32 v39, v39, v87
	v_or_b32_e32 v4, v4, v21
	v_add_f32_e32 v31, v31, v81
	v_add_f32_e32 v39, v39, v89
	v_lshlrev_b32_e32 v251, 3, v4
	ds_write2_b64 v250, v[30:31], v[34:35] offset1:8
	ds_write2_b64 v250, v[36:37], v[6:7] offset0:16 offset1:24
	ds_write_b64 v250, v[32:33] offset:256
	ds_write2_b64 v251, v[38:39], v[42:43] offset1:8
	ds_write2_b64 v251, v[44:45], v[0:1] offset0:16 offset1:24
	ds_write_b64 v251, v[40:41] offset:256
	v_lshrrev_b32_e32 v0, 3, v129
	v_mul_u32_u24_e32 v0, 40, v0
	v_or_b32_e32 v0, v0, v21
	v_lshlrev_b32_e32 v252, 3, v0
	v_lshrrev_b32_e32 v0, 3, v128
	v_add_f32_e32 v55, v55, v90
	v_mul_u32_u24_e32 v0, 40, v0
	v_add_f32_e32 v55, v55, v94
	v_sub_f32_e32 v68, v90, v86
	v_sub_f32_e32 v69, v94, v95
	v_or_b32_e32 v0, v0, v21
	v_add_f32_e32 v55, v55, v95
	v_add_f32_e32 v68, v68, v69
	v_lshlrev_b32_e32 v253, 3, v0
	v_fmac_f32_e32 v67, 0x3e9e377a, v68
	v_fmac_f32_e32 v61, 0x3e9e377a, v68
	ds_write2_b64 v252, v[46:47], v[50:51] offset1:8
	ds_write2_b64 v252, v[52:53], v[2:3] offset0:16 offset1:24
	ds_write_b64 v252, v[48:49] offset:256
	ds_write2_b64 v253, v[54:55], v[64:65] offset1:8
	ds_write2_b64 v253, v[66:67], v[60:61] offset0:16 offset1:24
	ds_write_b64 v253, v[62:63] offset:256
	s_waitcnt lgkmcnt(0)
	; wave barrier
	s_waitcnt lgkmcnt(0)
	ds_read2_b64 v[72:75], v209 offset1:56
	ds_read2_b64 v[68:71], v209 offset0:112 offset1:200
	ds_read2_b64 v[92:95], v11 offset0:144 offset1:200
	ds_read2_b64 v[80:83], v10 offset1:88
	ds_read2_b64 v[96:99], v20 offset0:32 offset1:88
	ds_read2_b64 v[76:79], v20 offset0:144 offset1:232
	;; [unrolled: 1-line block ×3, first 2 shown]
	ds_read2_b64 v[100:103], v11 offset1:56
	ds_read2_b64 v[88:91], v10 offset0:144 offset1:200
	ds_read2_b64 v[84:87], v9 offset0:32 offset1:88
	ds_read_b64 v[110:111], v209 offset:10496
	s_and_saveexec_b64 s[14:15], s[2:3]
	s_cbranch_execz .LBB0_17
; %bb.16:
	v_add_u32_e32 v0, 0x1100, v209
	ds_read2_b64 v[60:63], v0 offset0:24 offset1:224
	v_add_u32_e32 v0, 0x1e00, v209
	ds_read2_b64 v[64:67], v8 offset0:40 offset1:240
	ds_read2_b64 v[56:59], v0 offset0:8 offset1:208
	ds_read_b64 v[108:109], v209 offset:10944
.LBB0_17:
	s_or_b64 exec, exec, s[14:15]
	v_subrev_u32_e32 v0, 40, v211
	v_cmp_gt_u16_e32 vcc, 40, v211
	v_cndmask_b32_e32 v112, v0, v211, vcc
	v_mul_i32_i24_e32 v0, 48, v112
	v_mul_hi_i32_i24_e32 v1, 48, v112
	v_mov_b32_e32 v2, s5
	v_add_co_u32_e32 v0, vcc, s4, v0
	v_addc_co_u32_e32 v1, vcc, v2, v1, vcc
	s_movk_i32 s16, 0xcd
	global_load_dwordx4 v[32:35], v[0:1], off offset:304
	global_load_dwordx4 v[24:27], v[0:1], off offset:320
	;; [unrolled: 1-line block ×3, first 2 shown]
	v_mul_lo_u16_sdwa v0, v131, s16 dst_sel:DWORD dst_unused:UNUSED_PAD src0_sel:BYTE_0 src1_sel:DWORD
	v_lshrrev_b16_e32 v113, 13, v0
	v_mul_lo_u16_e32 v0, 40, v113
	v_sub_u16_e32 v0, v131, v0
	v_and_b32_e32 v114, 0xff, v0
	v_mad_u64_u32 v[0:1], s[14:15], v114, 48, s[4:5]
	global_load_dwordx4 v[40:43], v[0:1], off offset:304
	global_load_dwordx4 v[36:39], v[0:1], off offset:320
	;; [unrolled: 1-line block ×3, first 2 shown]
	v_mul_lo_u16_sdwa v0, v130, s16 dst_sel:DWORD dst_unused:UNUSED_PAD src0_sel:BYTE_0 src1_sel:DWORD
	v_lshrrev_b16_e32 v115, 13, v0
	v_mul_lo_u16_e32 v0, 40, v115
	v_sub_u16_e32 v0, v130, v0
	v_and_b32_e32 v116, 0xff, v0
	v_mad_u64_u32 v[0:1], s[14:15], v116, 48, s[4:5]
	v_mul_lo_u16_sdwa v2, v129, s16 dst_sel:DWORD dst_unused:UNUSED_PAD src0_sel:BYTE_0 src1_sel:DWORD
	v_lshrrev_b16_e32 v2, 13, v2
	global_load_dwordx4 v[48:51], v[0:1], off offset:304
	global_load_dwordx4 v[44:47], v[0:1], off offset:320
	v_mul_lo_u16_e32 v2, 40, v2
	global_load_dwordx4 v[52:55], v[0:1], off offset:336
	v_sub_u16_e32 v0, v129, v2
	v_and_b32_e32 v117, 0xff, v0
	v_mad_u64_u32 v[8:9], s[14:15], v117, 48, s[4:5]
	buffer_store_dword v0, off, s[20:23], 0 offset:96 ; 4-byte Folded Spill
	global_load_dwordx4 v[0:3], v[8:9], off offset:304
	s_nop 0
	global_load_dwordx4 v[4:7], v[8:9], off offset:336
	s_nop 0
	global_load_dwordx4 v[8:11], v[8:9], off offset:320
	s_mov_b32 s14, 0x3f5ff5aa
	s_mov_b32 s16, 0x3f3bfb3b
	;; [unrolled: 1-line block ×4, first 2 shown]
	v_cmp_lt_u16_e32 vcc, 39, v211
	s_waitcnt lgkmcnt(0)
	; wave barrier
	s_waitcnt vmcnt(12) lgkmcnt(0)
	v_mul_f32_e32 v118, v71, v33
	s_waitcnt vmcnt(11)
	v_mul_f32_e32 v122, v83, v25
	v_mul_f32_e32 v123, v82, v25
	;; [unrolled: 1-line block ×6, first 2 shown]
	s_waitcnt vmcnt(10)
	v_mul_f32_e32 v133, v78, v21
	v_mul_f32_e32 v134, v105, v23
	v_fma_f32 v70, v70, v32, -v118
	v_fma_f32 v82, v82, v24, -v122
	v_fmac_f32_e32 v123, v83, v24
	v_fma_f32 v83, v96, v26, -v124
	s_waitcnt vmcnt(9)
	v_mul_f32_e32 v96, v95, v43
	s_waitcnt vmcnt(8)
	v_mul_f32_e32 v118, v99, v39
	;; [unrolled: 2-line block ×3, first 2 shown]
	v_mul_f32_e32 v132, v79, v21
	v_mul_f32_e32 v135, v104, v23
	v_fmac_f32_e32 v119, v71, v32
	v_fma_f32 v71, v92, v34, -v120
	v_fmac_f32_e32 v125, v97, v26
	v_fmac_f32_e32 v133, v79, v20
	v_fma_f32 v79, v104, v22, -v134
	v_mul_f32_e32 v97, v94, v43
	v_mul_f32_e32 v104, v89, v37
	;; [unrolled: 1-line block ×4, first 2 shown]
	v_fma_f32 v94, v94, v42, -v96
	v_fma_f32 v96, v98, v38, -v118
	;; [unrolled: 1-line block ×3, first 2 shown]
	s_waitcnt vmcnt(6)
	v_mul_f32_e32 v84, v103, v49
	v_fma_f32 v78, v78, v20, -v132
	v_mul_f32_e32 v132, v107, v31
	v_fmac_f32_e32 v97, v95, v42
	v_fma_f32 v95, v88, v36, -v104
	v_fma_f32 v104, v102, v48, -v84
	v_mul_f32_e32 v102, v102, v49
	v_mul_f32_e32 v84, v81, v51
	;; [unrolled: 1-line block ×3, first 2 shown]
	v_fmac_f32_e32 v120, v99, v38
	v_fma_f32 v99, v106, v30, -v132
	v_fmac_f32_e32 v102, v103, v48
	v_fma_f32 v103, v80, v50, -v84
	v_mul_f32_e32 v106, v80, v51
	s_waitcnt vmcnt(5)
	v_mul_f32_e32 v80, v91, v45
	v_fmac_f32_e32 v134, v107, v30
	v_fma_f32 v107, v90, v44, -v80
	v_mul_f32_e32 v80, v77, v47
	v_fma_f32 v122, v76, v46, -v80
	v_mul_f32_e32 v132, v76, v47
	s_waitcnt vmcnt(4)
	v_mul_f32_e32 v76, v87, v53
	v_fma_f32 v136, v86, v52, -v76
	v_mul_f32_e32 v76, v111, v55
	v_fma_f32 v138, v110, v54, -v76
	s_waitcnt vmcnt(2)
	v_mul_f32_e32 v76, v67, v1
	v_fma_f32 v139, v66, v0, -v76
	v_mul_f32_e32 v66, v66, v1
	v_fmac_f32_e32 v66, v67, v0
	v_mul_f32_e32 v67, v61, v3
	v_fma_f32 v67, v60, v2, -v67
	v_mul_f32_e32 v60, v60, v3
	v_fmac_f32_e32 v60, v61, v2
	s_waitcnt vmcnt(0)
	v_mul_f32_e32 v61, v63, v9
	v_fma_f32 v61, v62, v8, -v61
	v_mul_f32_e32 v62, v62, v9
	v_mul_f32_e32 v121, v92, v35
	v_fmac_f32_e32 v62, v63, v8
	v_mul_f32_e32 v63, v57, v11
	v_fmac_f32_e32 v121, v93, v34
	v_fmac_f32_e32 v135, v105, v22
	v_fma_f32 v63, v56, v10, -v63
	v_mul_f32_e32 v56, v56, v11
	v_add_f32_e32 v76, v70, v79
	v_add_f32_e32 v80, v71, v78
	v_fmac_f32_e32 v106, v81, v50
	v_fmac_f32_e32 v132, v77, v46
	v_mul_f32_e32 v137, v86, v53
	v_fmac_f32_e32 v56, v57, v10
	v_mul_f32_e32 v57, v59, v5
	v_add_f32_e32 v77, v119, v135
	v_add_f32_e32 v81, v121, v133
	v_sub_f32_e32 v71, v71, v78
	v_add_f32_e32 v84, v82, v83
	v_sub_f32_e32 v82, v83, v82
	v_add_f32_e32 v86, v80, v76
	v_mul_f32_e32 v92, v101, v41
	v_mul_f32_e32 v105, v88, v37
	v_fmac_f32_e32 v124, v85, v28
	v_mul_f32_e32 v118, v90, v45
	v_fmac_f32_e32 v137, v87, v52
	v_fma_f32 v57, v58, v4, -v57
	v_mul_f32_e32 v58, v58, v5
	v_sub_f32_e32 v70, v70, v79
	v_sub_f32_e32 v78, v121, v133
	v_add_f32_e32 v85, v123, v125
	v_sub_f32_e32 v83, v125, v123
	v_add_f32_e32 v87, v81, v77
	v_sub_f32_e32 v88, v80, v76
	v_sub_f32_e32 v90, v76, v84
	v_sub_f32_e32 v80, v84, v80
	v_add_f32_e32 v76, v82, v71
	v_add_f32_e32 v84, v84, v86
	v_mul_f32_e32 v93, v100, v41
	v_fma_f32 v92, v100, v40, -v92
	v_fmac_f32_e32 v105, v89, v36
	v_fmac_f32_e32 v118, v91, v44
	;; [unrolled: 1-line block ×3, first 2 shown]
	v_mul_f32_e32 v59, v109, v7
	v_sub_f32_e32 v79, v119, v135
	v_sub_f32_e32 v89, v81, v77
	;; [unrolled: 1-line block ×4, first 2 shown]
	v_add_f32_e32 v77, v83, v78
	v_sub_f32_e32 v100, v82, v71
	v_sub_f32_e32 v82, v70, v82
	v_sub_f32_e32 v71, v71, v70
	v_add_f32_e32 v85, v85, v87
	v_add_f32_e32 v70, v76, v70
	;; [unrolled: 1-line block ×3, first 2 shown]
	v_fmac_f32_e32 v93, v101, v40
	v_fma_f32 v59, v108, v6, -v59
	v_mul_f32_e32 v140, v108, v7
	v_sub_f32_e32 v101, v83, v78
	v_sub_f32_e32 v83, v79, v83
	;; [unrolled: 1-line block ×3, first 2 shown]
	v_add_f32_e32 v79, v77, v79
	v_add_f32_e32 v77, v73, v85
	v_mov_b32_e32 v108, v76
	v_mul_f32_e32 v72, 0x3f4a47b2, v90
	v_mul_f32_e32 v73, 0x3f4a47b2, v91
	;; [unrolled: 1-line block ×8, first 2 shown]
	v_fmac_f32_e32 v108, 0xbf955555, v84
	v_mov_b32_e32 v84, v77
	v_fmac_f32_e32 v84, 0xbf955555, v85
	v_fma_f32 v85, v88, s16, -v86
	v_fma_f32 v86, v89, s16, -v87
	;; [unrolled: 1-line block ×3, first 2 shown]
	v_fmac_f32_e32 v72, 0x3d64c772, v80
	v_fma_f32 v80, v89, s15, -v73
	v_fmac_f32_e32 v73, 0x3d64c772, v81
	v_fma_f32 v71, v71, s14, -v90
	v_fmac_f32_e32 v90, 0x3eae86e6, v82
	v_fma_f32 v88, v78, s14, -v91
	v_fma_f32 v89, v82, s17, -v100
	v_fma_f32 v100, v83, s17, -v101
	v_fmac_f32_e32 v91, 0x3eae86e6, v83
	v_add_f32_e32 v73, v73, v84
	v_add_f32_e32 v85, v85, v108
	;; [unrolled: 1-line block ×5, first 2 shown]
	v_fmac_f32_e32 v90, 0x3ee1c552, v70
	v_fmac_f32_e32 v71, 0x3ee1c552, v70
	;; [unrolled: 1-line block ×5, first 2 shown]
	v_add_f32_e32 v72, v72, v108
	v_fmac_f32_e32 v91, 0x3ee1c552, v79
	v_sub_f32_e32 v79, v73, v90
	v_add_f32_e32 v80, v100, v87
	v_sub_f32_e32 v81, v101, v89
	v_sub_f32_e32 v82, v85, v88
	v_add_f32_e32 v83, v71, v86
	v_add_f32_e32 v84, v88, v85
	v_sub_f32_e32 v85, v86, v71
	v_sub_f32_e32 v86, v87, v100
	v_add_f32_e32 v87, v89, v101
	v_add_f32_e32 v89, v90, v73
	;; [unrolled: 1-line block ×5, first 2 shown]
	v_sub_f32_e32 v88, v72, v91
	v_add_f32_e32 v71, v93, v134
	v_sub_f32_e32 v72, v92, v99
	v_add_f32_e32 v91, v97, v124
	;; [unrolled: 2-line block ×3, first 2 shown]
	v_add_f32_e32 v98, v90, v70
	v_sub_f32_e32 v73, v93, v134
	v_sub_f32_e32 v93, v97, v124
	v_add_f32_e32 v97, v105, v120
	v_add_f32_e32 v99, v91, v71
	v_sub_f32_e32 v100, v90, v70
	v_sub_f32_e32 v70, v70, v94
	;; [unrolled: 1-line block ×3, first 2 shown]
	v_add_f32_e32 v94, v94, v98
	v_mul_f32_e32 v110, v110, v55
	v_sub_f32_e32 v95, v96, v95
	v_sub_f32_e32 v96, v120, v105
	;; [unrolled: 1-line block ×5, first 2 shown]
	v_add_f32_e32 v97, v97, v99
	v_add_f32_e32 v74, v74, v94
	v_fmac_f32_e32 v110, v111, v54
	v_fmac_f32_e32 v140, v109, v6
	v_add_f32_e32 v105, v95, v92
	v_add_f32_e32 v108, v96, v93
	v_sub_f32_e32 v109, v95, v92
	v_sub_f32_e32 v111, v96, v93
	v_add_f32_e32 v75, v75, v97
	v_mov_b32_e32 v119, v74
	v_sub_f32_e32 v95, v72, v95
	v_sub_f32_e32 v96, v73, v96
	;; [unrolled: 1-line block ×4, first 2 shown]
	v_add_f32_e32 v72, v105, v72
	v_add_f32_e32 v73, v108, v73
	v_mul_f32_e32 v70, 0x3f4a47b2, v70
	v_mul_f32_e32 v71, 0x3f4a47b2, v71
	;; [unrolled: 1-line block ×6, first 2 shown]
	v_fmac_f32_e32 v119, 0xbf955555, v94
	v_mov_b32_e32 v94, v75
	v_mul_f32_e32 v111, 0x3f5ff5aa, v93
	v_fmac_f32_e32 v94, 0xbf955555, v97
	v_fma_f32 v97, v100, s16, -v98
	v_fma_f32 v98, v101, s16, -v99
	;; [unrolled: 1-line block ×3, first 2 shown]
	v_fmac_f32_e32 v70, 0x3d64c772, v90
	v_fma_f32 v90, v101, s15, -v71
	v_fmac_f32_e32 v71, 0x3d64c772, v91
	v_fma_f32 v100, v92, s14, -v105
	;; [unrolled: 2-line block ×3, first 2 shown]
	v_fmac_f32_e32 v108, 0x3eae86e6, v96
	v_mul_f32_e32 v109, 0x3f5ff5aa, v92
	v_fma_f32 v111, v96, s17, -v111
	v_add_f32_e32 v70, v70, v119
	v_add_f32_e32 v71, v71, v94
	;; [unrolled: 1-line block ×4, first 2 shown]
	v_fmac_f32_e32 v105, 0x3ee1c552, v72
	v_fmac_f32_e32 v108, 0x3ee1c552, v73
	;; [unrolled: 1-line block ×4, first 2 shown]
	v_fma_f32 v109, v95, s17, -v109
	v_add_f32_e32 v98, v99, v119
	v_add_f32_e32 v99, v90, v94
	v_fmac_f32_e32 v111, 0x3ee1c552, v73
	v_add_f32_e32 v90, v108, v70
	v_sub_f32_e32 v91, v71, v105
	v_sub_f32_e32 v94, v96, v101
	v_add_f32_e32 v95, v100, v97
	v_add_f32_e32 v96, v101, v96
	v_sub_f32_e32 v97, v97, v100
	v_sub_f32_e32 v100, v70, v108
	v_add_f32_e32 v101, v105, v71
	v_add_f32_e32 v70, v104, v138
	;; [unrolled: 1-line block ×3, first 2 shown]
	v_sub_f32_e32 v73, v102, v110
	v_add_f32_e32 v102, v103, v136
	v_fmac_f32_e32 v109, 0x3ee1c552, v72
	v_sub_f32_e32 v72, v104, v138
	v_add_f32_e32 v104, v106, v137
	v_sub_f32_e32 v103, v103, v136
	v_sub_f32_e32 v105, v106, v137
	v_add_f32_e32 v106, v107, v122
	v_sub_f32_e32 v107, v122, v107
	v_add_f32_e32 v110, v102, v70
	v_add_f32_e32 v92, v111, v98
	v_sub_f32_e32 v93, v99, v109
	v_sub_f32_e32 v98, v98, v111
	v_add_f32_e32 v99, v109, v99
	v_add_f32_e32 v108, v118, v132
	v_sub_f32_e32 v109, v132, v118
	v_add_f32_e32 v111, v104, v71
	v_sub_f32_e32 v118, v102, v70
	v_sub_f32_e32 v70, v70, v106
	;; [unrolled: 1-line block ×3, first 2 shown]
	v_add_f32_e32 v102, v107, v103
	v_add_f32_e32 v106, v106, v110
	v_sub_f32_e32 v119, v104, v71
	v_sub_f32_e32 v71, v71, v108
	;; [unrolled: 1-line block ×3, first 2 shown]
	v_add_f32_e32 v121, v109, v105
	v_sub_f32_e32 v122, v107, v103
	v_sub_f32_e32 v123, v109, v105
	;; [unrolled: 1-line block ×4, first 2 shown]
	v_add_f32_e32 v108, v108, v111
	v_add_f32_e32 v72, v102, v72
	v_add_f32_e32 v102, v68, v106
	v_sub_f32_e32 v109, v73, v109
	v_sub_f32_e32 v105, v105, v73
	v_add_f32_e32 v73, v121, v73
	v_add_f32_e32 v103, v69, v108
	v_mul_f32_e32 v121, 0xbf08b237, v122
	v_mul_f32_e32 v122, 0xbf08b237, v123
	v_mov_b32_e32 v123, v102
	v_mul_f32_e32 v68, 0x3f4a47b2, v70
	v_mul_f32_e32 v69, 0x3f4a47b2, v71
	;; [unrolled: 1-line block ×4, first 2 shown]
	v_fmac_f32_e32 v123, 0xbf955555, v106
	v_mov_b32_e32 v106, v103
	v_fmac_f32_e32 v106, 0xbf955555, v108
	v_fma_f32 v70, v118, s16, -v70
	v_fma_f32 v71, v119, s16, -v71
	;; [unrolled: 1-line block ×4, first 2 shown]
	v_fmac_f32_e32 v69, 0x3d64c772, v104
	v_fma_f32 v119, v124, s14, -v121
	v_fmac_f32_e32 v121, 0x3eae86e6, v107
	v_mul_f32_e32 v111, 0x3f5ff5aa, v105
	v_fmac_f32_e32 v68, 0x3d64c772, v120
	v_fma_f32 v120, v105, s14, -v122
	v_add_f32_e32 v69, v69, v106
	v_add_f32_e32 v71, v71, v106
	v_fmac_f32_e32 v121, 0x3ee1c552, v72
	v_fmac_f32_e32 v119, 0x3ee1c552, v72
	v_mul_f32_e32 v110, 0x3f5ff5aa, v124
	v_fmac_f32_e32 v122, 0x3eae86e6, v109
	v_fma_f32 v125, v109, s17, -v111
	v_add_f32_e32 v70, v70, v123
	v_fmac_f32_e32 v120, 0x3ee1c552, v73
	v_sub_f32_e32 v105, v69, v121
	v_add_f32_e32 v109, v119, v71
	v_sub_f32_e32 v111, v71, v119
	v_add_f32_e32 v121, v121, v69
	v_add_f32_e32 v69, v66, v140
	;; [unrolled: 1-line block ×3, first 2 shown]
	v_fma_f32 v124, v107, s17, -v110
	v_add_f32_e32 v68, v68, v123
	v_add_f32_e32 v123, v108, v123
	v_fmac_f32_e32 v122, 0x3ee1c552, v73
	v_sub_f32_e32 v108, v70, v120
	v_add_f32_e32 v110, v120, v70
	v_add_f32_e32 v70, v67, v57
	v_sub_f32_e32 v57, v67, v57
	v_sub_f32_e32 v58, v60, v58
	v_add_f32_e32 v60, v61, v63
	v_add_f32_e32 v67, v62, v56
	v_sub_f32_e32 v61, v63, v61
	v_add_f32_e32 v63, v71, v69
	v_add_f32_e32 v132, v118, v106
	v_fmac_f32_e32 v124, 0x3ee1c552, v72
	v_fmac_f32_e32 v125, 0x3ee1c552, v73
	v_add_f32_e32 v104, v122, v68
	v_sub_f32_e32 v120, v68, v122
	v_add_f32_e32 v68, v139, v59
	v_sub_f32_e32 v59, v139, v59
	v_sub_f32_e32 v66, v66, v140
	;; [unrolled: 1-line block ×6, first 2 shown]
	v_add_f32_e32 v67, v67, v63
	v_add_f32_e32 v106, v125, v123
	v_sub_f32_e32 v107, v132, v124
	v_sub_f32_e32 v118, v123, v125
	v_add_f32_e32 v119, v124, v132
	v_add_f32_e32 v62, v70, v68
	v_sub_f32_e32 v72, v70, v68
	v_sub_f32_e32 v68, v68, v60
	;; [unrolled: 4-line block ×3, first 2 shown]
	v_sub_f32_e32 v132, v59, v61
	v_sub_f32_e32 v57, v57, v59
	;; [unrolled: 1-line block ×3, first 2 shown]
	v_add_f32_e32 v61, v65, v67
	v_sub_f32_e32 v56, v66, v56
	v_add_f32_e32 v59, v122, v59
	v_add_f32_e32 v122, v123, v66
	v_mul_f32_e32 v66, 0x3f4a47b2, v68
	v_mul_f32_e32 v65, 0x3d64c772, v71
	;; [unrolled: 1-line block ×5, first 2 shown]
	v_mov_b32_e32 v125, v61
	v_fmac_f32_e32 v125, 0xbf955555, v67
	v_fma_f32 v134, v73, s16, -v65
	v_fma_f32 v65, v58, s14, -v63
	v_fmac_f32_e32 v63, 0x3eae86e6, v56
	v_fma_f32 v67, v132, s17, -v68
	v_fma_f32 v68, v56, s17, -v123
	v_fmac_f32_e32 v63, 0x3ee1c552, v122
	v_fmac_f32_e32 v65, 0x3ee1c552, v122
	;; [unrolled: 1-line block ×3, first 2 shown]
	v_mov_b32_e32 v122, 0x118
	v_add_f32_e32 v133, v60, v62
	v_cndmask_b32_e32 v122, 0, v122, vcc
	v_sub_f32_e32 v70, v60, v70
	v_add_f32_e32 v60, v64, v133
	v_add_lshl_u32 v254, v112, v122, 3
	v_mul_f32_e32 v69, 0x3f4a47b2, v69
	v_mul_f32_e32 v64, 0x3d64c772, v70
	;; [unrolled: 1-line block ×3, first 2 shown]
	v_mov_b32_e32 v124, v60
	ds_write2_b64 v254, v[76:77], v[78:79] offset1:40
	ds_write2_b64 v254, v[80:81], v[82:83] offset0:80 offset1:120
	ds_write2_b64 v254, v[84:85], v[86:87] offset0:160 offset1:200
	ds_write_b64 v254, v[88:89] offset:1920
	v_mul_u32_u24_e32 v76, 0x118, v113
	v_fmac_f32_e32 v124, 0xbf955555, v133
	v_fma_f32 v133, v72, s16, -v64
	v_fma_f32 v135, v72, s15, -v66
	v_fmac_f32_e32 v66, 0x3d64c772, v70
	v_fma_f32 v73, v73, s15, -v69
	v_fmac_f32_e32 v69, 0x3d64c772, v71
	;; [unrolled: 2-line block ×3, first 2 shown]
	v_add_lshl_u32 v255, v76, v114, 3
	v_add_f32_e32 v66, v66, v124
	v_add_f32_e32 v69, v69, v125
	;; [unrolled: 1-line block ×6, first 2 shown]
	v_fmac_f32_e32 v62, 0x3ee1c552, v59
	v_fmac_f32_e32 v64, 0x3ee1c552, v59
	;; [unrolled: 1-line block ×3, first 2 shown]
	ds_write2_b64 v255, v[74:75], v[90:91] offset1:40
	ds_write2_b64 v255, v[92:93], v[94:95] offset0:80 offset1:120
	ds_write2_b64 v255, v[96:97], v[98:99] offset0:160 offset1:200
	ds_write_b64 v255, v[100:101] offset:1920
	v_mul_u32_u24_e32 v74, 0x118, v115
	v_add_f32_e32 v56, v65, v70
	v_sub_f32_e32 v57, v72, v64
	v_sub_f32_e32 v58, v71, v68
	v_add_f32_e32 v59, v67, v73
	v_sub_f32_e32 v205, v66, v63
	v_add_f32_e32 v206, v62, v69
	v_add_lshl_u32 v219, v74, v116, 3
	ds_write2_b64 v219, v[102:103], v[104:105] offset1:40
	ds_write2_b64 v219, v[106:107], v[108:109] offset0:80 offset1:120
	ds_write2_b64 v219, v[110:111], v[118:119] offset0:160 offset1:200
	ds_write_b64 v219, v[120:121] offset:1920
	s_and_saveexec_b64 s[14:15], s[2:3]
	s_cbranch_execz .LBB0_19
; %bb.18:
	v_sub_f32_e32 v74, v70, v65
	v_sub_f32_e32 v65, v73, v67
	;; [unrolled: 1-line block ×3, first 2 shown]
	v_lshlrev_b32_e32 v62, 3, v117
	v_add_f32_e32 v66, v63, v66
	v_add_u32_e32 v63, 0x2000, v62
	v_add_f32_e32 v75, v64, v72
	v_add_f32_e32 v64, v68, v71
	ds_write2_b64 v63, v[60:61], v[66:67] offset0:96 offset1:136
	ds_write2_b64 v63, v[64:65], v[74:75] offset0:176 offset1:216
	v_add_u32_e32 v60, 0x2800, v62
	ds_write2_b64 v60, v[56:57], v[58:59] offset1:40
	ds_write_b64 v62, v[205:206] offset:10880
.LBB0_19:
	s_or_b64 exec, exec, s[14:15]
	v_lshlrev_b32_e32 v60, 3, v211
	v_add_co_u32_e32 v132, vcc, s12, v60
	v_mov_b32_e32 v60, s13
	v_add_u32_e32 v136, 0x400, v209
	v_add_u32_e32 v212, 0x1000, v209
	;; [unrolled: 1-line block ×7, first 2 shown]
	v_lshlrev_b32_e32 v64, 5, v211
	v_addc_co_u32_e32 v133, vcc, 0, v60, vcc
	s_waitcnt lgkmcnt(0)
	; wave barrier
	s_waitcnt lgkmcnt(0)
	ds_read2_b64 v[108:111], v209 offset1:56
	ds_read2_b64 v[100:103], v136 offset0:96 offset1:152
	ds_read2_b64 v[74:77], v212 offset0:48 offset1:104
	ds_read2_b64 v[112:115], v137 offset0:16 offset1:72
	ds_read2_b64 v[78:81], v213 offset0:96 offset1:152
	ds_read2_b64 v[82:85], v151 offset0:80 offset1:136
	ds_read2_b64 v[86:89], v137 offset0:128 offset1:184
	ds_read2_b64 v[104:107], v209 offset0:112 offset1:168
	ds_read2_b64 v[90:93], v212 offset0:160 offset1:216
	ds_read2_b64 v[94:97], v150 offset0:80 offset1:136
	ds_read2_b64 v[120:123], v151 offset0:192 offset1:248
	ds_read2_b64 v[116:119], v134 offset0:112 offset1:168
	ds_read_b64 v[124:125], v209 offset:10752
	global_load_dwordx4 v[60:63], v64, s[4:5] offset:2240
	s_nop 0
	global_load_dwordx4 v[64:67], v64, s[4:5] offset:2224
	v_lshlrev_b32_e32 v72, 5, v131
	s_movk_i32 s12, 0x2000
	s_waitcnt vmcnt(1) lgkmcnt(8)
	v_mul_f32_e32 v144, v78, v63
	s_waitcnt vmcnt(0)
	v_mul_f32_e32 v68, v103, v65
	v_fma_f32 v216, v102, v64, -v68
	v_mul_f32_e32 v68, v75, v67
	v_fma_f32 v217, v74, v66, -v68
	v_mul_f32_e32 v68, v115, v61
	v_mul_f32_e32 v140, v74, v67
	v_fma_f32 v221, v114, v60, -v68
	v_mul_f32_e32 v68, v79, v63
	v_fmac_f32_e32 v140, v75, v66
	v_fma_f32 v224, v78, v62, -v68
	global_load_dwordx4 v[68:71], v72, s[4:5] offset:2240
	s_nop 0
	global_load_dwordx4 v[72:75], v72, s[4:5] offset:2224
	v_mul_f32_e32 v142, v114, v61
	v_fmac_f32_e32 v142, v115, v60
	v_fmac_f32_e32 v144, v79, v62
	v_mul_f32_e32 v135, v102, v65
	v_fmac_f32_e32 v135, v103, v64
	s_waitcnt vmcnt(1)
	v_mul_f32_e32 v143, v80, v71
	s_waitcnt vmcnt(0) lgkmcnt(7)
	v_mul_f32_e32 v78, v83, v73
	v_fma_f32 v147, v82, v72, -v78
	v_mul_f32_e32 v78, v77, v75
	v_fma_f32 v148, v76, v74, -v78
	v_mul_f32_e32 v131, v76, v75
	s_waitcnt lgkmcnt(6)
	v_mul_f32_e32 v76, v87, v69
	v_fma_f32 v218, v86, v68, -v76
	v_mul_f32_e32 v76, v81, v71
	v_mul_f32_e32 v115, v82, v73
	v_fma_f32 v223, v80, v70, -v76
	v_lshlrev_b32_e32 v80, 5, v130
	v_fmac_f32_e32 v115, v83, v72
	v_fmac_f32_e32 v131, v77, v74
	;; [unrolled: 1-line block ×3, first 2 shown]
	global_load_dwordx4 v[76:79], v80, s[4:5] offset:2240
	s_nop 0
	global_load_dwordx4 v[80:83], v80, s[4:5] offset:2224
	v_mul_f32_e32 v139, v86, v69
	v_fmac_f32_e32 v139, v87, v68
	s_waitcnt vmcnt(1)
	v_mul_f32_e32 v138, v88, v77
	s_waitcnt vmcnt(0)
	v_mul_f32_e32 v86, v85, v81
	v_fma_f32 v145, v84, v80, -v86
	v_mul_f32_e32 v103, v84, v81
	s_waitcnt lgkmcnt(4)
	v_mul_f32_e32 v84, v91, v83
	v_fma_f32 v146, v90, v82, -v84
	v_mul_f32_e32 v84, v89, v77
	v_mul_f32_e32 v130, v90, v83
	v_fma_f32 v149, v88, v76, -v84
	s_waitcnt lgkmcnt(3)
	v_mul_f32_e32 v84, v95, v79
	v_lshlrev_b32_e32 v88, 5, v129
	v_fmac_f32_e32 v103, v85, v80
	v_fmac_f32_e32 v130, v91, v82
	;; [unrolled: 1-line block ×3, first 2 shown]
	v_fma_f32 v222, v94, v78, -v84
	global_load_dwordx4 v[84:87], v88, s[4:5] offset:2240
	s_nop 0
	global_load_dwordx4 v[88:91], v88, s[4:5] offset:2224
	v_mul_f32_e32 v141, v94, v79
	v_fmac_f32_e32 v141, v95, v78
	s_waitcnt vmcnt(0) lgkmcnt(2)
	v_mul_f32_e32 v94, v121, v89
	v_fma_f32 v129, v120, v88, -v94
	v_mul_f32_e32 v94, v93, v91
	v_mul_f32_e32 v102, v120, v89
	v_fma_f32 v120, v92, v90, -v94
	v_mul_f32_e32 v114, v92, v91
	s_waitcnt lgkmcnt(1)
	v_mul_f32_e32 v92, v117, v85
	v_fmac_f32_e32 v102, v121, v88
	v_fma_f32 v121, v116, v84, -v92
	v_mul_f32_e32 v116, v116, v85
	v_mul_f32_e32 v92, v97, v87
	v_fmac_f32_e32 v116, v117, v84
	v_fma_f32 v220, v96, v86, -v92
	v_mul_f32_e32 v117, v96, v87
	v_lshlrev_b32_e32 v96, 5, v128
	v_fmac_f32_e32 v114, v93, v90
	v_fmac_f32_e32 v117, v97, v86
	global_load_dwordx4 v[92:95], v96, s[4:5] offset:2240
	s_nop 0
	global_load_dwordx4 v[96:99], v96, s[4:5] offset:2224
	s_movk_i32 s4, 0x2bc0
	s_waitcnt vmcnt(1)
	v_mul_f32_e32 v238, v118, v93
	s_waitcnt vmcnt(0)
	v_mul_f32_e32 v128, v123, v97
	v_fma_f32 v232, v122, v96, -v128
	v_mul_f32_e32 v234, v122, v97
	v_mul_f32_e32 v122, v113, v99
	;; [unrolled: 1-line block ×3, first 2 shown]
	v_fma_f32 v235, v112, v98, -v122
	v_fmac_f32_e32 v236, v113, v98
	v_mul_f32_e32 v112, v119, v93
	v_add_f32_e32 v113, v217, v221
	v_fma_f32 v237, v118, v92, -v112
	v_fma_f32 v118, -0.5, v113, v108
	s_waitcnt lgkmcnt(0)
	v_mul_f32_e32 v112, v125, v95
	v_sub_f32_e32 v113, v135, v144
	v_mov_b32_e32 v122, v118
	v_fmac_f32_e32 v234, v123, v96
	v_fmac_f32_e32 v238, v119, v92
	v_fma_f32 v240, v124, v94, -v112
	v_mul_f32_e32 v241, v124, v95
	v_fmac_f32_e32 v122, 0x3f737871, v113
	v_sub_f32_e32 v119, v140, v142
	v_sub_f32_e32 v123, v216, v217
	;; [unrolled: 1-line block ×3, first 2 shown]
	v_fmac_f32_e32 v118, 0xbf737871, v113
	v_fmac_f32_e32 v122, 0x3f167918, v119
	v_add_f32_e32 v123, v123, v124
	v_fmac_f32_e32 v118, 0xbf167918, v119
	v_fmac_f32_e32 v122, 0x3e9e377a, v123
	;; [unrolled: 1-line block ×3, first 2 shown]
	v_add_f32_e32 v123, v216, v224
	v_add_f32_e32 v112, v108, v216
	v_fma_f32 v108, -0.5, v123, v108
	v_mov_b32_e32 v124, v108
	v_fmac_f32_e32 v241, v125, v94
	v_fmac_f32_e32 v124, 0xbf737871, v119
	v_sub_f32_e32 v123, v217, v216
	v_sub_f32_e32 v125, v221, v224
	v_fmac_f32_e32 v108, 0x3f737871, v119
	v_add_f32_e32 v119, v140, v142
	v_fmac_f32_e32 v124, 0x3f167918, v113
	v_add_f32_e32 v123, v123, v125
	v_fmac_f32_e32 v108, 0xbf167918, v113
	v_fma_f32 v119, -0.5, v119, v109
	v_fmac_f32_e32 v124, 0x3e9e377a, v123
	v_fmac_f32_e32 v108, 0x3e9e377a, v123
	v_sub_f32_e32 v128, v216, v224
	v_mov_b32_e32 v123, v119
	v_add_f32_e32 v112, v112, v217
	v_fmac_f32_e32 v123, 0xbf737871, v128
	v_sub_f32_e32 v216, v217, v221
	v_sub_f32_e32 v125, v135, v140
	;; [unrolled: 1-line block ×3, first 2 shown]
	v_fmac_f32_e32 v119, 0x3f737871, v128
	v_fmac_f32_e32 v123, 0xbf167918, v216
	v_add_f32_e32 v125, v125, v217
	v_fmac_f32_e32 v119, 0x3f167918, v216
	v_fmac_f32_e32 v123, 0x3e9e377a, v125
	;; [unrolled: 1-line block ×3, first 2 shown]
	v_add_f32_e32 v125, v135, v144
	v_add_f32_e32 v113, v109, v135
	v_fma_f32 v109, -0.5, v125, v109
	v_mov_b32_e32 v125, v109
	v_fmac_f32_e32 v125, 0x3f737871, v216
	v_fmac_f32_e32 v109, 0xbf737871, v216
	;; [unrolled: 1-line block ×4, first 2 shown]
	v_add_f32_e32 v128, v110, v147
	v_add_f32_e32 v128, v128, v148
	;; [unrolled: 1-line block ×8, first 2 shown]
	v_sub_f32_e32 v135, v140, v135
	v_sub_f32_e32 v140, v142, v144
	v_fma_f32 v224, -0.5, v128, v110
	v_add_f32_e32 v135, v135, v140
	v_sub_f32_e32 v128, v115, v143
	v_mov_b32_e32 v226, v224
	v_add_f32_e32 v113, v113, v142
	v_fmac_f32_e32 v125, 0x3e9e377a, v135
	v_fmac_f32_e32 v109, 0x3e9e377a, v135
	;; [unrolled: 1-line block ×3, first 2 shown]
	v_sub_f32_e32 v135, v131, v139
	v_sub_f32_e32 v140, v147, v148
	v_sub_f32_e32 v142, v223, v218
	v_fmac_f32_e32 v224, 0xbf737871, v128
	v_fmac_f32_e32 v226, 0x3f167918, v135
	v_add_f32_e32 v140, v140, v142
	v_fmac_f32_e32 v224, 0xbf167918, v135
	v_fmac_f32_e32 v226, 0x3e9e377a, v140
	;; [unrolled: 1-line block ×3, first 2 shown]
	v_add_f32_e32 v140, v147, v223
	v_fma_f32 v110, -0.5, v140, v110
	v_mov_b32_e32 v228, v110
	v_fmac_f32_e32 v228, 0xbf737871, v135
	v_fmac_f32_e32 v110, 0x3f737871, v135
	;; [unrolled: 1-line block ×4, first 2 shown]
	v_add_f32_e32 v128, v111, v115
	v_add_f32_e32 v128, v128, v131
	;; [unrolled: 1-line block ×5, first 2 shown]
	v_sub_f32_e32 v140, v148, v147
	v_sub_f32_e32 v142, v218, v223
	v_fma_f32 v225, -0.5, v128, v111
	v_add_f32_e32 v140, v140, v142
	v_sub_f32_e32 v128, v147, v223
	v_mov_b32_e32 v227, v225
	v_fmac_f32_e32 v228, 0x3e9e377a, v140
	v_fmac_f32_e32 v110, 0x3e9e377a, v140
	;; [unrolled: 1-line block ×3, first 2 shown]
	v_sub_f32_e32 v135, v148, v218
	v_sub_f32_e32 v140, v115, v131
	;; [unrolled: 1-line block ×3, first 2 shown]
	v_fmac_f32_e32 v225, 0x3f737871, v128
	v_fmac_f32_e32 v227, 0xbf167918, v135
	v_add_f32_e32 v140, v140, v142
	v_fmac_f32_e32 v225, 0x3f167918, v135
	v_fmac_f32_e32 v227, 0x3e9e377a, v140
	;; [unrolled: 1-line block ×3, first 2 shown]
	v_add_f32_e32 v140, v115, v143
	v_fmac_f32_e32 v111, -0.5, v140
	v_mov_b32_e32 v229, v111
	v_fmac_f32_e32 v229, 0x3f737871, v135
	v_sub_f32_e32 v115, v131, v115
	v_sub_f32_e32 v131, v139, v143
	v_fmac_f32_e32 v111, 0xbf737871, v135
	v_fmac_f32_e32 v229, 0xbf167918, v128
	v_add_f32_e32 v115, v115, v131
	v_fmac_f32_e32 v111, 0x3f167918, v128
	v_fmac_f32_e32 v229, 0x3e9e377a, v115
	;; [unrolled: 1-line block ×3, first 2 shown]
	v_add_f32_e32 v115, v104, v145
	v_add_f32_e32 v115, v115, v146
	;; [unrolled: 1-line block ×5, first 2 shown]
	v_fma_f32 v142, -0.5, v115, v104
	v_add_f32_e32 v113, v113, v144
	v_sub_f32_e32 v115, v103, v141
	v_mov_b32_e32 v144, v142
	v_fmac_f32_e32 v144, 0x3f737871, v115
	v_sub_f32_e32 v128, v130, v138
	v_sub_f32_e32 v131, v145, v146
	;; [unrolled: 1-line block ×3, first 2 shown]
	v_fmac_f32_e32 v142, 0xbf737871, v115
	v_fmac_f32_e32 v144, 0x3f167918, v128
	v_add_f32_e32 v131, v131, v135
	v_fmac_f32_e32 v142, 0xbf167918, v128
	v_fmac_f32_e32 v144, 0x3e9e377a, v131
	;; [unrolled: 1-line block ×3, first 2 shown]
	v_add_f32_e32 v131, v145, v222
	v_fma_f32 v104, -0.5, v131, v104
	v_mov_b32_e32 v221, v104
	v_fmac_f32_e32 v221, 0xbf737871, v128
	v_fmac_f32_e32 v104, 0x3f737871, v128
	;; [unrolled: 1-line block ×4, first 2 shown]
	v_add_f32_e32 v115, v105, v103
	v_add_f32_e32 v115, v115, v130
	;; [unrolled: 1-line block ×5, first 2 shown]
	v_sub_f32_e32 v131, v146, v145
	v_sub_f32_e32 v135, v149, v222
	v_fma_f32 v143, -0.5, v115, v105
	v_add_f32_e32 v131, v131, v135
	v_sub_f32_e32 v115, v145, v222
	v_mov_b32_e32 v145, v143
	v_fmac_f32_e32 v221, 0x3e9e377a, v131
	v_fmac_f32_e32 v104, 0x3e9e377a, v131
	;; [unrolled: 1-line block ×3, first 2 shown]
	v_sub_f32_e32 v128, v146, v149
	v_sub_f32_e32 v131, v103, v130
	;; [unrolled: 1-line block ×3, first 2 shown]
	v_fmac_f32_e32 v143, 0x3f737871, v115
	v_fmac_f32_e32 v145, 0xbf167918, v128
	v_add_f32_e32 v131, v131, v135
	v_fmac_f32_e32 v143, 0x3f167918, v128
	v_fmac_f32_e32 v145, 0x3e9e377a, v131
	;; [unrolled: 1-line block ×3, first 2 shown]
	v_add_f32_e32 v131, v103, v141
	v_fma_f32 v105, -0.5, v131, v105
	v_mov_b32_e32 v222, v105
	v_fmac_f32_e32 v222, 0x3f737871, v128
	v_sub_f32_e32 v103, v130, v103
	v_sub_f32_e32 v130, v138, v141
	v_fmac_f32_e32 v105, 0xbf737871, v128
	v_fmac_f32_e32 v222, 0xbf167918, v115
	v_add_f32_e32 v103, v103, v130
	v_fmac_f32_e32 v105, 0x3f167918, v115
	v_fmac_f32_e32 v222, 0x3e9e377a, v103
	;; [unrolled: 1-line block ×3, first 2 shown]
	v_add_f32_e32 v103, v106, v129
	v_add_f32_e32 v103, v103, v120
	;; [unrolled: 1-line block ×5, first 2 shown]
	v_fma_f32 v146, -0.5, v103, v106
	v_sub_f32_e32 v103, v102, v117
	v_mov_b32_e32 v128, v146
	v_fmac_f32_e32 v128, 0x3f737871, v103
	v_sub_f32_e32 v115, v114, v116
	v_sub_f32_e32 v131, v129, v120
	;; [unrolled: 1-line block ×3, first 2 shown]
	v_fmac_f32_e32 v146, 0xbf737871, v103
	v_fmac_f32_e32 v128, 0x3f167918, v115
	v_add_f32_e32 v131, v131, v135
	v_fmac_f32_e32 v146, 0xbf167918, v115
	v_fmac_f32_e32 v128, 0x3e9e377a, v131
	;; [unrolled: 1-line block ×3, first 2 shown]
	v_add_f32_e32 v131, v129, v220
	v_fma_f32 v106, -0.5, v131, v106
	v_mov_b32_e32 v230, v106
	v_fmac_f32_e32 v230, 0xbf737871, v115
	v_fmac_f32_e32 v106, 0x3f737871, v115
	;; [unrolled: 1-line block ×4, first 2 shown]
	v_add_f32_e32 v103, v107, v102
	v_sub_f32_e32 v131, v120, v129
	v_sub_f32_e32 v135, v121, v220
	v_add_f32_e32 v103, v103, v114
	v_add_f32_e32 v131, v131, v135
	v_add_f32_e32 v103, v103, v116
	v_fmac_f32_e32 v230, 0x3e9e377a, v131
	v_fmac_f32_e32 v106, 0x3e9e377a, v131
	v_add_f32_e32 v131, v103, v117
	v_add_f32_e32 v103, v114, v116
	v_fma_f32 v147, -0.5, v103, v107
	v_sub_f32_e32 v103, v129, v220
	v_mov_b32_e32 v129, v147
	v_fmac_f32_e32 v129, 0xbf737871, v103
	v_sub_f32_e32 v115, v120, v121
	v_sub_f32_e32 v120, v102, v114
	;; [unrolled: 1-line block ×3, first 2 shown]
	v_fmac_f32_e32 v147, 0x3f737871, v103
	v_fmac_f32_e32 v129, 0xbf167918, v115
	v_add_f32_e32 v120, v120, v121
	v_fmac_f32_e32 v147, 0x3f167918, v115
	v_fmac_f32_e32 v129, 0x3e9e377a, v120
	;; [unrolled: 1-line block ×3, first 2 shown]
	v_add_f32_e32 v120, v102, v117
	v_fmac_f32_e32 v107, -0.5, v120
	v_mov_b32_e32 v231, v107
	v_fmac_f32_e32 v231, 0x3f737871, v115
	v_fmac_f32_e32 v107, 0xbf737871, v115
	;; [unrolled: 1-line block ×4, first 2 shown]
	v_add_f32_e32 v103, v235, v237
	v_sub_f32_e32 v102, v114, v102
	v_sub_f32_e32 v114, v116, v117
	v_fma_f32 v148, -0.5, v103, v100
	v_add_f32_e32 v102, v102, v114
	v_sub_f32_e32 v103, v234, v241
	v_mov_b32_e32 v114, v148
	v_fmac_f32_e32 v114, 0x3f737871, v103
	v_sub_f32_e32 v115, v236, v238
	v_sub_f32_e32 v116, v232, v235
	;; [unrolled: 1-line block ×3, first 2 shown]
	v_fmac_f32_e32 v148, 0xbf737871, v103
	v_fmac_f32_e32 v114, 0x3f167918, v115
	v_add_f32_e32 v116, v116, v117
	v_fmac_f32_e32 v148, 0xbf167918, v115
	v_fmac_f32_e32 v114, 0x3e9e377a, v116
	;; [unrolled: 1-line block ×3, first 2 shown]
	v_add_f32_e32 v116, v232, v240
	v_fmac_f32_e32 v231, 0x3e9e377a, v102
	v_fmac_f32_e32 v107, 0x3e9e377a, v102
	v_add_f32_e32 v102, v100, v232
	v_fma_f32 v100, -0.5, v116, v100
	v_mov_b32_e32 v116, v100
	v_fmac_f32_e32 v116, 0xbf737871, v115
	v_fmac_f32_e32 v100, 0x3f737871, v115
	v_add_f32_e32 v115, v236, v238
	v_sub_f32_e32 v117, v235, v232
	v_sub_f32_e32 v120, v237, v240
	v_fma_f32 v149, -0.5, v115, v101
	v_fmac_f32_e32 v116, 0x3f167918, v103
	v_add_f32_e32 v117, v117, v120
	v_fmac_f32_e32 v100, 0xbf167918, v103
	v_sub_f32_e32 v120, v232, v240
	v_mov_b32_e32 v115, v149
	v_fmac_f32_e32 v116, 0x3e9e377a, v117
	v_fmac_f32_e32 v100, 0x3e9e377a, v117
	v_fmac_f32_e32 v115, 0xbf737871, v120
	v_sub_f32_e32 v121, v235, v237
	v_sub_f32_e32 v117, v234, v236
	;; [unrolled: 1-line block ×3, first 2 shown]
	v_fmac_f32_e32 v149, 0x3f737871, v120
	v_fmac_f32_e32 v115, 0xbf167918, v121
	v_add_f32_e32 v117, v117, v135
	v_fmac_f32_e32 v149, 0x3f167918, v121
	v_fmac_f32_e32 v115, 0x3e9e377a, v117
	;; [unrolled: 1-line block ×3, first 2 shown]
	v_add_f32_e32 v117, v234, v241
	v_add_f32_e32 v103, v101, v234
	v_fmac_f32_e32 v101, -0.5, v117
	v_mov_b32_e32 v117, v101
	v_add_f32_e32 v102, v102, v235
	v_add_f32_e32 v103, v103, v236
	v_fmac_f32_e32 v117, 0x3f737871, v121
	v_sub_f32_e32 v135, v236, v234
	v_sub_f32_e32 v138, v238, v241
	v_fmac_f32_e32 v101, 0xbf737871, v121
	v_add_f32_e32 v102, v102, v237
	v_add_f32_e32 v103, v103, v238
	v_fmac_f32_e32 v117, 0xbf167918, v120
	v_add_f32_e32 v135, v135, v138
	v_fmac_f32_e32 v101, 0x3f167918, v120
	v_add_f32_e32 v102, v102, v240
	v_add_f32_e32 v103, v103, v241
	v_fmac_f32_e32 v117, 0x3e9e377a, v135
	v_fmac_f32_e32 v101, 0x3e9e377a, v135
	ds_write_b64 v209, v[122:123] offset:2240
	ds_write_b64 v209, v[124:125] offset:4480
	ds_write_b64 v209, v[108:109] offset:6720
	ds_write_b64 v209, v[118:119] offset:8960
	ds_write2_b64 v209, v[112:113], v[216:217] offset1:56
	ds_write2_b64 v151, v[226:227], v[144:145] offset0:80 offset1:136
	ds_write2_b64 v212, v[228:229], v[221:222] offset0:104 offset1:160
	ds_write2_b64 v137, v[110:111], v[104:105] offset0:128 offset1:184
	ds_write2_b64 v213, v[224:225], v[142:143] offset0:152 offset1:208
	ds_write2_b64 v209, v[139:140], v[130:131] offset0:112 offset1:168
	ds_write_b64 v209, v[230:231] offset:5824
	ds_write_b64 v209, v[106:107] offset:8064
	;; [unrolled: 1-line block ×4, first 2 shown]
	ds_write2_b64 v151, v[128:129], v[114:115] offset0:192 offset1:248
	ds_write_b64 v209, v[116:117] offset:6272
	ds_write_b64 v209, v[100:101] offset:8512
	;; [unrolled: 1-line block ×3, first 2 shown]
	v_add_co_u32_e32 v100, vcc, s4, v132
	v_addc_co_u32_e32 v101, vcc, 0, v133, vcc
	v_add_co_u32_e32 v106, vcc, s12, v132
	v_addc_co_u32_e32 v107, vcc, 0, v133, vcc
	s_waitcnt lgkmcnt(0)
	; wave barrier
	s_waitcnt lgkmcnt(0)
	global_load_dwordx2 v[106:107], v[106:107], off offset:3008
	s_movk_i32 s4, 0x4000
	v_add_co_u32_e32 v112, vcc, s4, v132
	v_addc_co_u32_e32 v113, vcc, 0, v133, vcc
	global_load_dwordx2 v[110:111], v[112:113], off offset:416
	ds_read2_b64 v[102:105], v209 offset1:56
	s_movk_i32 s4, 0x5000
	s_waitcnt vmcnt(1) lgkmcnt(0)
	v_mul_f32_e32 v108, v103, v107
	v_mul_f32_e32 v109, v102, v107
	v_fma_f32 v108, v102, v106, -v108
	v_fmac_f32_e32 v109, v103, v106
	ds_write_b64 v209, v[108:109]
	ds_read2_b64 v[106:109], v212 offset0:188 offset1:244
	s_waitcnt vmcnt(0) lgkmcnt(0)
	v_mul_f32_e32 v102, v107, v111
	v_mul_f32_e32 v103, v106, v111
	v_fma_f32 v102, v106, v110, -v102
	v_fmac_f32_e32 v103, v107, v110
	global_load_dwordx2 v[106:107], v[100:101], off offset:448
	s_waitcnt vmcnt(0)
	v_mul_f32_e32 v110, v105, v107
	v_mul_f32_e32 v111, v104, v107
	v_fma_f32 v110, v104, v106, -v110
	v_fmac_f32_e32 v111, v105, v106
	global_load_dwordx2 v[104:105], v[112:113], off offset:864
	s_waitcnt vmcnt(0)
	v_mul_f32_e32 v106, v109, v105
	v_mul_f32_e32 v115, v108, v105
	v_fma_f32 v114, v108, v104, -v106
	v_fmac_f32_e32 v115, v109, v104
	global_load_dwordx2 v[108:109], v[100:101], off offset:896
	ds_read2_b64 v[104:107], v209 offset0:112 offset1:168
	s_waitcnt vmcnt(0) lgkmcnt(0)
	v_mul_f32_e32 v116, v105, v109
	v_mul_f32_e32 v117, v104, v109
	v_fma_f32 v116, v104, v108, -v116
	v_fmac_f32_e32 v117, v105, v108
	global_load_dwordx2 v[104:105], v[112:113], off offset:1312
	ds_write2_b64 v209, v[110:111], v[116:117] offset0:56 offset1:112
	ds_read2_b64 v[108:111], v137 offset0:44 offset1:100
	s_waitcnt vmcnt(0) lgkmcnt(0)
	v_mul_f32_e32 v116, v109, v105
	v_mul_f32_e32 v117, v108, v105
	v_fma_f32 v116, v108, v104, -v116
	v_fmac_f32_e32 v117, v109, v104
	v_add_u32_e32 v104, 0x1400, v209
	ds_write2_b64 v104, v[114:115], v[116:117] offset0:116 offset1:172
	global_load_dwordx2 v[104:105], v[100:101], off offset:1344
	s_waitcnt vmcnt(0)
	v_mul_f32_e32 v108, v107, v105
	v_mul_f32_e32 v109, v106, v105
	v_fma_f32 v108, v106, v104, -v108
	v_fmac_f32_e32 v109, v107, v104
	global_load_dwordx2 v[104:105], v[112:113], off offset:1760
	s_waitcnt vmcnt(0)
	v_mul_f32_e32 v106, v111, v105
	v_mul_f32_e32 v115, v110, v105
	v_fma_f32 v114, v110, v104, -v106
	v_fmac_f32_e32 v115, v111, v104
	global_load_dwordx2 v[110:111], v[100:101], off offset:1792
	ds_read2_b64 v[104:107], v136 offset0:96 offset1:152
	s_waitcnt vmcnt(0) lgkmcnt(0)
	v_mul_f32_e32 v116, v105, v111
	v_mul_f32_e32 v117, v104, v111
	v_fma_f32 v116, v104, v110, -v116
	v_fmac_f32_e32 v117, v105, v110
	global_load_dwordx2 v[104:105], v[112:113], off offset:2208
	ds_write2_b64 v209, v[108:109], v[116:117] offset0:168 offset1:224
	ds_read2_b64 v[108:111], v137 offset0:156 offset1:212
	s_waitcnt vmcnt(0) lgkmcnt(0)
	v_mul_f32_e32 v116, v109, v105
	v_mul_f32_e32 v117, v108, v105
	v_fma_f32 v116, v108, v104, -v116
	v_fmac_f32_e32 v117, v109, v104
	global_load_dwordx2 v[104:105], v[100:101], off offset:2240
	ds_write2_b64 v137, v[114:115], v[116:117] offset0:100 offset1:156
	s_waitcnt vmcnt(0)
	v_mul_f32_e32 v108, v107, v105
	v_mul_f32_e32 v109, v106, v105
	v_fma_f32 v108, v106, v104, -v108
	v_fmac_f32_e32 v109, v107, v104
	global_load_dwordx2 v[104:105], v[112:113], off offset:2656
	s_waitcnt vmcnt(0)
	v_mul_f32_e32 v106, v111, v105
	v_mul_f32_e32 v115, v110, v105
	v_fma_f32 v114, v110, v104, -v106
	v_fmac_f32_e32 v115, v111, v104
	global_load_dwordx2 v[110:111], v[100:101], off offset:2688
	ds_read2_b64 v[104:107], v151 offset0:80 offset1:136
	s_waitcnt vmcnt(0) lgkmcnt(0)
	v_mul_f32_e32 v116, v105, v111
	v_mul_f32_e32 v117, v104, v111
	v_fma_f32 v116, v104, v110, -v116
	v_fmac_f32_e32 v117, v105, v110
	global_load_dwordx2 v[104:105], v[112:113], off offset:3104
	ds_write2_b64 v151, v[108:109], v[116:117] offset0:24 offset1:80
	ds_read2_b64 v[108:111], v213 offset0:12 offset1:68
	s_waitcnt vmcnt(0) lgkmcnt(0)
	v_mul_f32_e32 v116, v109, v105
	v_mul_f32_e32 v117, v108, v105
	v_fma_f32 v116, v108, v104, -v116
	v_fmac_f32_e32 v117, v109, v104
	global_load_dwordx2 v[104:105], v[100:101], off offset:3136
	ds_write2_b64 v134, v[114:115], v[116:117] offset0:84 offset1:140
	;; [unrolled: 28-line block ×3, first 2 shown]
	v_add_co_u32_e32 v112, vcc, s4, v132
	v_addc_co_u32_e32 v113, vcc, 0, v133, vcc
	s_movk_i32 s4, 0x3000
	v_add_co_u32_e32 v116, vcc, s4, v132
	v_addc_co_u32_e32 v117, vcc, 0, v133, vcc
	s_waitcnt vmcnt(0)
	v_mul_f32_e32 v108, v107, v105
	v_mul_f32_e32 v109, v106, v105
	v_fma_f32 v108, v106, v104, -v108
	v_fmac_f32_e32 v109, v107, v104
	global_load_dwordx2 v[104:105], v[112:113], off offset:352
	s_waitcnt vmcnt(0)
	v_mul_f32_e32 v106, v111, v105
	v_mul_f32_e32 v115, v110, v105
	v_fma_f32 v114, v110, v104, -v106
	v_fmac_f32_e32 v115, v111, v104
	global_load_dwordx2 v[110:111], v[116:117], off offset:3392
	ds_read2_b64 v[104:107], v212 offset0:48 offset1:104
	s_waitcnt vmcnt(0) lgkmcnt(0)
	v_mul_f32_e32 v118, v105, v111
	v_mul_f32_e32 v119, v104, v111
	v_fma_f32 v118, v104, v110, -v118
	v_fmac_f32_e32 v119, v105, v110
	v_add_u32_e32 v104, 0xc00, v209
	ds_write2_b64 v104, v[108:109], v[118:119] offset0:120 offset1:176
	global_load_dwordx2 v[104:105], v[112:113], off offset:800
	ds_read2_b64 v[108:111], v150 offset0:108 offset1:164
	s_waitcnt vmcnt(0) lgkmcnt(0)
	v_mul_f32_e32 v118, v109, v105
	v_mul_f32_e32 v119, v108, v105
	v_fma_f32 v118, v108, v104, -v118
	v_fmac_f32_e32 v119, v109, v104
	global_load_dwordx2 v[104:105], v[116:117], off offset:3840
	ds_write2_b64 v213, v[114:115], v[118:119] offset0:180 offset1:236
	s_waitcnt vmcnt(0)
	v_mul_f32_e32 v108, v107, v105
	v_mul_f32_e32 v109, v106, v105
	v_fma_f32 v108, v106, v104, -v108
	v_fmac_f32_e32 v109, v107, v104
	ds_write2_b64 v212, v[108:109], v[102:103] offset0:104 offset1:188
	global_load_dwordx2 v[102:103], v[112:113], off offset:1248
	s_waitcnt vmcnt(0)
	v_mul_f32_e32 v104, v111, v103
	v_mul_f32_e32 v105, v110, v103
	v_fma_f32 v104, v110, v102, -v104
	v_fmac_f32_e32 v105, v111, v102
	ds_write_b64 v209, v[104:105] offset:10528
	s_and_saveexec_b64 s[4:5], s[0:1]
	s_cbranch_execz .LBB0_21
; %bb.20:
	v_add_co_u32_e32 v102, vcc, 0x1000, v100
	v_addc_co_u32_e32 v103, vcc, 0, v101, vcc
	v_add_co_u32_e32 v100, vcc, 0x2000, v100
	global_load_dwordx2 v[102:103], v[102:103], off offset:1280
	v_addc_co_u32_e32 v101, vcc, 0, v101, vcc
	global_load_dwordx2 v[100:101], v[100:101], off offset:2784
	ds_read_b64 v[104:105], v209 offset:5376
	ds_read_b64 v[106:107], v209 offset:10976
	s_waitcnt vmcnt(1) lgkmcnt(1)
	v_mul_f32_e32 v108, v105, v103
	v_mul_f32_e32 v109, v104, v103
	v_fma_f32 v108, v104, v102, -v108
	v_fmac_f32_e32 v109, v105, v102
	s_waitcnt vmcnt(0) lgkmcnt(0)
	v_mul_f32_e32 v103, v107, v101
	v_mul_f32_e32 v102, v106, v101
	v_fma_f32 v101, v106, v100, -v103
	v_fmac_f32_e32 v102, v107, v100
	ds_write_b64 v209, v[108:109] offset:5376
	ds_write_b64 v209, v[101:102] offset:10976
.LBB0_21:
	s_or_b64 exec, exec, s[4:5]
	v_lshlrev_b32_e32 v217, 3, v126
	v_lshlrev_b32_e32 v216, 3, v127
	s_waitcnt lgkmcnt(0)
	; wave barrier
	s_waitcnt lgkmcnt(0)
	ds_read2_b64 v[132:135], v209 offset1:56
	ds_read2_b64 v[144:147], v212 offset0:188 offset1:244
	ds_read2_b64 v[124:127], v209 offset0:112 offset1:168
	;; [unrolled: 1-line block ×11, first 2 shown]
	v_lshlrev_b32_e32 v213, 3, v233
	v_lshlrev_b32_e32 v212, 3, v239
	;; [unrolled: 1-line block ×4, first 2 shown]
	s_and_saveexec_b64 s[4:5], s[0:1]
	s_cbranch_execz .LBB0_23
; %bb.22:
	ds_read_b64 v[148:149], v209 offset:5376
	ds_read_b64 v[56:57], v209 offset:10976
.LBB0_23:
	s_or_b64 exec, exec, s[4:5]
	s_waitcnt lgkmcnt(10)
	v_sub_f32_e32 v222, v132, v144
	v_sub_f32_e32 v223, v133, v145
	;; [unrolled: 1-line block ×3, first 2 shown]
	s_waitcnt lgkmcnt(8)
	v_sub_f32_e32 v142, v126, v142
	s_waitcnt lgkmcnt(6)
	v_sub_f32_e32 v138, v118, v138
	;; [unrolled: 2-line block ×5, first 2 shown]
	v_fma_f32 v220, v132, 2.0, -v222
	v_fma_f32 v221, v133, 2.0, -v223
	;; [unrolled: 1-line block ×3, first 2 shown]
	v_sub_f32_e32 v134, v124, v140
	v_fma_f32 v140, v126, 2.0, -v142
	v_sub_f32_e32 v126, v116, v136
	v_fma_f32 v136, v118, 2.0, -v138
	;; [unrolled: 2-line block ×5, first 2 shown]
	v_sub_f32_e32 v102, v148, v56
	v_lshlrev_b32_e32 v56, 4, v211
	s_waitcnt lgkmcnt(0)
	; wave barrier
	ds_write_b128 v56, v[220:223]
	buffer_load_dword v56, off, s[20:23], 0 offset:4 ; 4-byte Folded Reload
	v_sub_f32_e32 v147, v135, v147
	v_fma_f32 v145, v135, 2.0, -v147
	v_sub_f32_e32 v135, v125, v141
	v_fma_f32 v132, v124, 2.0, -v134
	v_fma_f32 v133, v125, 2.0, -v135
	v_sub_f32_e32 v143, v127, v143
	v_fma_f32 v141, v127, 2.0, -v143
	v_sub_f32_e32 v127, v117, v137
	v_sub_f32_e32 v139, v119, v139
	;; [unrolled: 1-line block ×5, first 2 shown]
	v_fma_f32 v124, v116, 2.0, -v126
	v_fma_f32 v125, v117, 2.0, -v127
	;; [unrolled: 1-line block ×3, first 2 shown]
	v_sub_f32_e32 v119, v109, v129
	v_fma_f32 v129, v111, 2.0, -v131
	v_sub_f32_e32 v111, v105, v121
	v_fma_f32 v121, v107, 2.0, -v123
	;; [unrolled: 2-line block ×4, first 2 shown]
	v_fma_f32 v117, v109, 2.0, -v119
	v_fma_f32 v108, v104, 2.0, -v110
	;; [unrolled: 1-line block ×7, first 2 shown]
	s_waitcnt vmcnt(0)
	ds_write_b128 v56, v[144:147]
	buffer_load_dword v56, off, s[20:23], 0 offset:8 ; 4-byte Folded Reload
	s_waitcnt vmcnt(0)
	ds_write_b128 v56, v[132:135]
	buffer_load_dword v56, off, s[20:23], 0 offset:12 ; 4-byte Folded Reload
	s_waitcnt vmcnt(0)
	ds_write_b128 v56, v[140:143]
	buffer_load_dword v56, off, s[20:23], 0 offset:16 ; 4-byte Folded Reload
	s_waitcnt vmcnt(0)
	ds_write_b128 v56, v[124:127]
	ds_write_b128 v217, v[136:139]
	;; [unrolled: 1-line block ×4, first 2 shown]
	v_lshlrev_b32_e32 v56, 4, v210
	ds_write_b128 v56, v[108:111]
	ds_write_b128 v212, v[120:123]
	;; [unrolled: 1-line block ×4, first 2 shown]
	s_and_saveexec_b64 s[4:5], s[0:1]
	s_cbranch_execz .LBB0_25
; %bb.24:
	buffer_load_dword v56, off, s[20:23], 0 offset:100 ; 4-byte Folded Reload
	s_waitcnt vmcnt(0)
	ds_write_b128 v56, v[100:103]
.LBB0_25:
	s_or_b64 exec, exec, s[4:5]
	v_add_u32_e32 v56, 0x1000, v209
	v_add_u32_e32 v57, 0x1800, v209
	;; [unrolled: 1-line block ×3, first 2 shown]
	s_waitcnt lgkmcnt(0)
	; wave barrier
	s_waitcnt lgkmcnt(0)
	ds_read2_b64 v[124:127], v209 offset1:56
	ds_read2_b64 v[148:151], v56 offset0:188 offset1:244
	ds_read2_b64 v[116:119], v209 offset0:112 offset1:168
	ds_read2_b64 v[144:147], v57 offset0:44 offset1:100
	ds_read2_b64 v[120:123], v104 offset0:96 offset1:152
	ds_read2_b64 v[140:143], v57 offset0:156 offset1:212
	v_add_u32_e32 v57, 0x800, v209
	v_add_u32_e32 v104, 0x2000, v209
	ds_read2_b64 v[112:115], v57 offset0:80 offset1:136
	ds_read2_b64 v[136:139], v104 offset0:12 offset1:68
	;; [unrolled: 1-line block ×5, first 2 shown]
	v_add_u32_e32 v56, 0x2400, v209
	ds_read2_b64 v[128:131], v56 offset0:108 offset1:164
	s_and_saveexec_b64 s[4:5], s[0:1]
	s_cbranch_execz .LBB0_27
; %bb.26:
	ds_read_b64 v[100:101], v209 offset:5376
	ds_read_b64 v[102:103], v209 offset:10976
.LBB0_27:
	s_or_b64 exec, exec, s[4:5]
	s_waitcnt lgkmcnt(10)
	v_mul_f32_e32 v56, v202, v149
	v_fmac_f32_e32 v56, v201, v148
	v_mul_f32_e32 v57, v202, v148
	v_mul_f32_e32 v148, v202, v151
	v_fma_f32 v57, v201, v149, -v57
	v_fmac_f32_e32 v148, v201, v150
	v_mul_f32_e32 v149, v202, v150
	s_waitcnt lgkmcnt(8)
	v_mul_f32_e32 v150, v202, v145
	v_fmac_f32_e32 v150, v201, v144
	v_mul_f32_e32 v144, v202, v144
	v_fma_f32 v144, v201, v145, -v144
	v_mul_f32_e32 v145, v202, v147
	v_fmac_f32_e32 v145, v201, v146
	v_mul_f32_e32 v146, v202, v146
	v_fma_f32 v146, v201, v147, -v146
	s_waitcnt lgkmcnt(6)
	v_mul_f32_e32 v147, v202, v141
	v_fmac_f32_e32 v147, v201, v140
	v_mul_f32_e32 v140, v202, v140
	v_fma_f32 v140, v201, v141, -v140
	v_mul_f32_e32 v141, v202, v143
	v_fmac_f32_e32 v141, v201, v142
	v_mul_f32_e32 v142, v202, v142
	v_fma_f32 v142, v201, v143, -v142
	s_waitcnt lgkmcnt(4)
	v_mul_f32_e32 v143, v202, v137
	s_waitcnt lgkmcnt(2)
	v_mul_f32_e32 v216, v202, v133
	;; [unrolled: 2-line block ×3, first 2 shown]
	v_fmac_f32_e32 v143, v201, v136
	v_mul_f32_e32 v136, v202, v136
	v_fmac_f32_e32 v216, v201, v132
	v_mul_f32_e32 v132, v202, v132
	;; [unrolled: 2-line block ×3, first 2 shown]
	v_mul_f32_e32 v225, v202, v103
	v_fma_f32 v149, v201, v151, -v149
	v_fma_f32 v151, v201, v137, -v136
	v_mul_f32_e32 v212, v202, v139
	v_mul_f32_e32 v136, v202, v138
	v_fma_f32 v217, v201, v133, -v132
	v_mul_f32_e32 v218, v202, v135
	v_mul_f32_e32 v132, v202, v134
	;; [unrolled: 3-line block ×3, first 2 shown]
	v_fmac_f32_e32 v225, v201, v102
	v_mul_f32_e32 v102, v202, v102
	v_fmac_f32_e32 v212, v201, v138
	v_fma_f32 v213, v201, v139, -v136
	v_fmac_f32_e32 v218, v201, v134
	v_fma_f32 v220, v201, v135, -v132
	;; [unrolled: 2-line block ×3, first 2 shown]
	v_fma_f32 v201, v201, v103, -v102
	v_sub_f32_e32 v102, v124, v56
	v_sub_f32_e32 v56, v100, v225
	;; [unrolled: 1-line block ×3, first 2 shown]
	v_fma_f32 v148, v100, 2.0, -v56
	s_waitcnt lgkmcnt(0)
	; wave barrier
	buffer_load_dword v100, off, s[20:23], 0 offset:20 ; 4-byte Folded Reload
	v_sub_f32_e32 v103, v125, v57
	v_fma_f32 v124, v124, 2.0, -v102
	v_fma_f32 v125, v125, 2.0, -v103
	v_sub_f32_e32 v129, v127, v149
	v_fma_f32 v126, v126, 2.0, -v128
	v_fma_f32 v127, v127, 2.0, -v129
	v_sub_f32_e32 v130, v116, v150
	v_sub_f32_e32 v131, v117, v144
	v_fma_f32 v116, v116, 2.0, -v130
	v_fma_f32 v117, v117, 2.0, -v131
	v_sub_f32_e32 v132, v118, v145
	;; [unrolled: 4-line block ×10, first 2 shown]
	v_sub_f32_e32 v151, v107, v224
	v_sub_f32_e32 v57, v101, v201
	v_fma_f32 v106, v106, 2.0, -v150
	v_fma_f32 v107, v107, 2.0, -v151
	;; [unrolled: 1-line block ×3, first 2 shown]
	s_waitcnt vmcnt(0)
	ds_write2_b64 v100, v[124:125], v[102:103] offset1:2
	buffer_load_dword v100, off, s[20:23], 0 offset:24 ; 4-byte Folded Reload
	s_waitcnt vmcnt(0)
	ds_write2_b64 v100, v[126:127], v[128:129] offset1:2
	buffer_load_dword v100, off, s[20:23], 0 offset:28 ; 4-byte Folded Reload
	;; [unrolled: 3-line block ×11, first 2 shown]
	s_waitcnt vmcnt(0)
	ds_write2_b64 v100, v[106:107], v[150:151] offset1:2
	s_and_saveexec_b64 s[4:5], s[0:1]
	s_cbranch_execz .LBB0_29
; %bb.28:
	buffer_load_dword v100, off, s[20:23], 0 ; 4-byte Folded Reload
	s_movk_i32 s12, 0x57c
	s_waitcnt vmcnt(0)
	v_and_or_b32 v100, v100, s12, v214
	v_lshlrev_b32_e32 v100, 3, v100
	ds_write2_b64 v100, v[148:149], v[56:57] offset1:2
.LBB0_29:
	s_or_b64 exec, exec, s[4:5]
	v_add_u32_e32 v100, 0x1000, v209
	v_add_u32_e32 v101, 0x1800, v209
	v_add_u32_e32 v102, 0x400, v209
	s_waitcnt lgkmcnt(0)
	; wave barrier
	s_waitcnt lgkmcnt(0)
	ds_read2_b64 v[120:123], v209 offset1:56
	ds_read2_b64 v[144:147], v100 offset0:188 offset1:244
	ds_read2_b64 v[112:115], v209 offset0:112 offset1:168
	;; [unrolled: 1-line block ×5, first 2 shown]
	v_add_u32_e32 v101, 0x800, v209
	v_add_u32_e32 v102, 0x2000, v209
	ds_read2_b64 v[108:111], v101 offset0:80 offset1:136
	ds_read2_b64 v[132:135], v102 offset0:12 offset1:68
	;; [unrolled: 1-line block ×5, first 2 shown]
	v_add_u32_e32 v124, 0x2400, v209
	ds_read2_b64 v[124:127], v124 offset0:108 offset1:164
	s_and_saveexec_b64 s[4:5], s[0:1]
	s_cbranch_execz .LBB0_31
; %bb.30:
	ds_read_b64 v[148:149], v209 offset:5376
	ds_read_b64 v[56:57], v209 offset:10976
.LBB0_31:
	s_or_b64 exec, exec, s[4:5]
	s_waitcnt lgkmcnt(0)
	v_mul_f32_e32 v217, v204, v125
	v_mul_f32_e32 v150, v204, v145
	v_fmac_f32_e32 v217, v203, v124
	v_mul_f32_e32 v124, v204, v124
	v_fmac_f32_e32 v150, v203, v144
	v_fma_f32 v218, v203, v125, -v124
	v_mul_f32_e32 v124, v204, v126
	v_fma_f32 v221, v203, v127, -v124
	v_sub_f32_e32 v124, v120, v150
	s_waitcnt lgkmcnt(0)
	; wave barrier
	buffer_load_dword v150, off, s[20:23], 0 offset:68 ; 4-byte Folded Reload
	v_mul_f32_e32 v144, v204, v144
	v_fma_f32 v144, v203, v145, -v144
	v_sub_f32_e32 v125, v121, v144
	v_fma_f32 v120, v120, 2.0, -v124
	v_fma_f32 v121, v121, 2.0, -v125
	v_mul_f32_e32 v145, v204, v147
	v_fmac_f32_e32 v145, v203, v146
	v_mul_f32_e32 v146, v204, v146
	v_fma_f32 v146, v203, v147, -v146
	v_mul_f32_e32 v220, v204, v127
	v_fmac_f32_e32 v220, v203, v126
	v_sub_f32_e32 v126, v122, v145
	v_sub_f32_e32 v127, v123, v146
	v_fma_f32 v122, v122, 2.0, -v126
	v_fma_f32 v123, v123, 2.0, -v127
	v_mul_f32_e32 v147, v204, v141
	v_mul_f32_e32 v212, v204, v129
	v_fmac_f32_e32 v147, v203, v140
	v_mul_f32_e32 v140, v204, v140
	v_fmac_f32_e32 v212, v203, v128
	v_mul_f32_e32 v128, v204, v128
	v_fma_f32 v140, v203, v141, -v140
	v_fma_f32 v213, v203, v129, -v128
	v_mul_f32_e32 v128, v204, v130
	v_fma_f32 v216, v203, v131, -v128
	v_sub_f32_e32 v128, v112, v147
	v_sub_f32_e32 v129, v113, v140
	v_fma_f32 v112, v112, 2.0, -v128
	v_fma_f32 v113, v113, 2.0, -v129
	v_mul_f32_e32 v141, v204, v143
	v_fmac_f32_e32 v141, v203, v142
	v_mul_f32_e32 v142, v204, v142
	v_fma_f32 v142, v203, v143, -v142
	v_mul_f32_e32 v214, v204, v131
	v_fmac_f32_e32 v214, v203, v130
	v_sub_f32_e32 v130, v114, v141
	v_sub_f32_e32 v131, v115, v142
	v_fma_f32 v114, v114, 2.0, -v130
	v_fma_f32 v115, v115, 2.0, -v131
	v_mul_f32_e32 v143, v204, v137
	v_fmac_f32_e32 v143, v203, v136
	v_mul_f32_e32 v136, v204, v136
	v_fma_f32 v136, v203, v137, -v136
	v_mul_f32_e32 v137, v204, v139
	v_fmac_f32_e32 v137, v203, v138
	v_mul_f32_e32 v138, v204, v138
	v_fma_f32 v138, v203, v139, -v138
	;; [unrolled: 4-line block ×3, first 2 shown]
	v_mul_f32_e32 v132, v204, v134
	v_fma_f32 v202, v203, v135, -v132
	v_sub_f32_e32 v132, v116, v143
	v_sub_f32_e32 v133, v117, v136
	v_fma_f32 v116, v116, 2.0, -v132
	v_fma_f32 v117, v117, 2.0, -v133
	v_mul_f32_e32 v201, v204, v135
	v_fmac_f32_e32 v201, v203, v134
	v_sub_f32_e32 v134, v118, v137
	v_sub_f32_e32 v135, v119, v138
	v_fma_f32 v118, v118, 2.0, -v134
	v_fma_f32 v119, v119, 2.0, -v135
	v_mul_f32_e32 v222, v204, v57
	v_fmac_f32_e32 v222, v203, v56
	v_mul_f32_e32 v56, v204, v56
	v_fma_f32 v57, v203, v57, -v56
	v_sub_f32_e32 v136, v108, v139
	v_sub_f32_e32 v137, v109, v151
	v_fma_f32 v108, v108, 2.0, -v136
	v_fma_f32 v109, v109, 2.0, -v137
	v_sub_f32_e32 v138, v110, v201
	v_sub_f32_e32 v139, v111, v202
	;; [unrolled: 1-line block ×8, first 2 shown]
	s_waitcnt vmcnt(0)
	ds_write2_b64 v150, v[120:121], v[124:125] offset1:4
	buffer_load_dword v120, off, s[20:23], 0 offset:72 ; 4-byte Folded Reload
	v_sub_f32_e32 v146, v102, v220
	v_sub_f32_e32 v147, v103, v221
	;; [unrolled: 1-line block ×4, first 2 shown]
	v_fma_f32 v110, v110, 2.0, -v138
	v_fma_f32 v111, v111, 2.0, -v139
	;; [unrolled: 1-line block ×10, first 2 shown]
	s_waitcnt vmcnt(0)
	ds_write2_b64 v120, v[122:123], v[126:127] offset1:4
	buffer_load_dword v120, off, s[20:23], 0 offset:76 ; 4-byte Folded Reload
	s_waitcnt vmcnt(0)
	ds_write2_b64 v120, v[112:113], v[128:129] offset1:4
	buffer_load_dword v112, off, s[20:23], 0 offset:80 ; 4-byte Folded Reload
	;; [unrolled: 3-line block ×5, first 2 shown]
	s_waitcnt vmcnt(0)
	ds_write2_b64 v112, v[108:109], v[136:137] offset1:4
	ds_write2_b64 v243, v[110:111], v[138:139] offset1:4
	;; [unrolled: 1-line block ×6, first 2 shown]
	s_and_saveexec_b64 s[4:5], s[0:1]
	s_cbranch_execz .LBB0_33
; %bb.32:
	buffer_load_dword v102, off, s[20:23], 0 ; 4-byte Folded Reload
	s_movk_i32 s12, 0x578
	v_fma_f32 v101, v149, 2.0, -v57
	v_fma_f32 v100, v148, 2.0, -v56
	s_waitcnt vmcnt(0)
	v_and_or_b32 v102, v102, s12, v215
	v_lshlrev_b32_e32 v102, 3, v102
	ds_write2_b64 v102, v[100:101], v[56:57] offset1:4
.LBB0_33:
	s_or_b64 exec, exec, s[4:5]
	v_add_u32_e32 v142, 0x400, v209
	s_waitcnt lgkmcnt(0)
	; wave barrier
	s_waitcnt lgkmcnt(0)
	ds_read2_b64 v[100:103], v142 offset0:96 offset1:152
	v_add_u32_e32 v116, 0x1000, v209
	ds_read2_b64 v[112:115], v116 offset0:48 offset1:104
	v_add_u32_e32 v118, 0x1800, v209
	;; [unrolled: 2-line block ×3, first 2 shown]
	ds_read2_b64 v[124:127], v117 offset0:96 offset1:152
	s_waitcnt lgkmcnt(3)
	v_mul_f32_e32 v151, v17, v103
	v_fmac_f32_e32 v151, v16, v102
	v_mul_f32_e32 v102, v17, v102
	v_fma_f32 v102, v16, v103, -v102
	s_waitcnt lgkmcnt(2)
	v_mul_f32_e32 v103, v19, v113
	v_add_u32_e32 v119, 0x800, v209
	v_fmac_f32_e32 v103, v18, v112
	v_mul_f32_e32 v112, v19, v112
	ds_read2_b64 v[104:107], v209 offset1:56
	ds_read2_b64 v[128:131], v119 offset0:80 offset1:136
	ds_read2_b64 v[132:135], v118 offset0:128 offset1:184
	;; [unrolled: 1-line block ×4, first 2 shown]
	v_fma_f32 v212, v18, v113, -v112
	s_waitcnt lgkmcnt(6)
	v_mul_f32_e32 v213, v13, v123
	v_mul_f32_e32 v112, v13, v122
	v_fmac_f32_e32 v213, v12, v122
	v_fma_f32 v122, v12, v123, -v112
	s_waitcnt lgkmcnt(5)
	v_mul_f32_e32 v112, v15, v124
	v_mul_f32_e32 v113, v15, v125
	v_fma_f32 v123, v14, v125, -v112
	s_waitcnt lgkmcnt(3)
	v_mul_f32_e32 v125, v17, v129
	v_mul_f32_e32 v112, v17, v128
	v_fmac_f32_e32 v125, v16, v128
	v_fma_f32 v128, v16, v129, -v112
	v_mul_f32_e32 v112, v19, v114
	v_add_u32_e32 v140, 0x2400, v209
	v_fma_f32 v214, v18, v115, -v112
	s_waitcnt lgkmcnt(2)
	v_mul_f32_e32 v215, v13, v133
	v_mul_f32_e32 v112, v13, v132
	ds_read2_b64 v[143:146], v140 offset0:80 offset1:136
	ds_read2_b64 v[147:150], v119 offset0:192 offset1:248
	v_fmac_f32_e32 v215, v12, v132
	v_fma_f32 v132, v12, v133, -v112
	v_mul_f32_e32 v112, v15, v126
	v_fma_f32 v216, v14, v127, -v112
	v_mul_f32_e32 v112, v17, v130
	v_add_u32_e32 v140, 0x1c00, v209
	v_fma_f32 v218, v16, v131, -v112
	s_waitcnt lgkmcnt(2)
	v_mul_f32_e32 v220, v19, v137
	v_mul_f32_e32 v112, v19, v136
	ds_read2_b64 v[201:204], v140 offset0:112 offset1:168
	ds_read_b64 v[140:141], v209 offset:10752
	v_fmac_f32_e32 v220, v18, v136
	v_fma_f32 v136, v18, v137, -v112
	v_mul_f32_e32 v112, v13, v134
	v_mul_f32_e32 v137, v13, v135
	v_fma_f32 v221, v12, v135, -v112
	s_waitcnt lgkmcnt(3)
	v_mul_f32_e32 v135, v15, v144
	v_mul_f32_e32 v112, v15, v143
	v_fmac_f32_e32 v135, v14, v143
	v_fma_f32 v143, v14, v144, -v112
	s_waitcnt lgkmcnt(2)
	v_mul_f32_e32 v144, v17, v148
	v_mul_f32_e32 v112, v17, v147
	v_fmac_f32_e32 v144, v16, v147
	v_fma_f32 v147, v16, v148, -v112
	v_mul_f32_e32 v112, v19, v138
	v_fma_f32 v222, v18, v139, -v112
	s_waitcnt lgkmcnt(1)
	v_mul_f32_e32 v223, v13, v202
	v_mul_f32_e32 v112, v13, v201
	;; [unrolled: 1-line block ×4, first 2 shown]
	v_fmac_f32_e32 v137, v12, v134
	v_fmac_f32_e32 v223, v12, v201
	v_fma_f32 v201, v12, v202, -v112
	v_fmac_f32_e32 v226, v12, v203
	v_fma_f32 v203, v12, v204, -v13
	s_waitcnt lgkmcnt(0)
	v_mul_f32_e32 v12, v15, v140
	v_fma_f32 v204, v14, v141, -v12
	v_add_f32_e32 v12, v104, v151
	v_mul_f32_e32 v217, v17, v131
	v_mul_f32_e32 v224, v17, v150
	;; [unrolled: 1-line block ×3, first 2 shown]
	v_add_f32_e32 v12, v12, v103
	v_fmac_f32_e32 v113, v14, v124
	v_fmac_f32_e32 v217, v16, v130
	;; [unrolled: 1-line block ×3, first 2 shown]
	v_fma_f32 v149, v16, v150, -v17
	v_mul_f32_e32 v16, v19, v120
	v_add_f32_e32 v12, v12, v213
	v_mul_f32_e32 v129, v19, v115
	v_mul_f32_e32 v148, v19, v139
	;; [unrolled: 1-line block ×3, first 2 shown]
	v_fma_f32 v225, v18, v121, -v16
	v_add_f32_e32 v16, v12, v113
	v_add_f32_e32 v12, v103, v213
	v_fmac_f32_e32 v129, v18, v114
	v_fmac_f32_e32 v148, v18, v138
	v_mul_f32_e32 v202, v15, v146
	v_mul_f32_e32 v112, v15, v145
	v_fmac_f32_e32 v150, v18, v120
	v_fma_f32 v18, -0.5, v12, v104
	v_mul_f32_e32 v133, v15, v127
	v_fmac_f32_e32 v202, v14, v145
	v_fma_f32 v145, v14, v146, -v112
	v_mul_f32_e32 v13, v15, v141
	v_sub_f32_e32 v12, v102, v123
	v_mov_b32_e32 v112, v18
	v_fmac_f32_e32 v133, v14, v126
	v_fmac_f32_e32 v13, v14, v140
	;; [unrolled: 1-line block ×3, first 2 shown]
	v_sub_f32_e32 v14, v212, v122
	v_sub_f32_e32 v15, v151, v103
	;; [unrolled: 1-line block ×3, first 2 shown]
	v_fmac_f32_e32 v18, 0x3f737871, v12
	v_fmac_f32_e32 v112, 0xbf167918, v14
	v_add_f32_e32 v15, v15, v17
	v_fmac_f32_e32 v18, 0x3f167918, v14
	v_fmac_f32_e32 v112, 0x3e9e377a, v15
	;; [unrolled: 1-line block ×3, first 2 shown]
	v_add_f32_e32 v15, v151, v113
	v_fma_f32 v104, -0.5, v15, v104
	v_mov_b32_e32 v114, v104
	v_fmac_f32_e32 v114, 0x3f737871, v14
	v_fmac_f32_e32 v104, 0xbf737871, v14
	v_fmac_f32_e32 v114, 0xbf167918, v12
	v_fmac_f32_e32 v104, 0x3f167918, v12
	v_add_f32_e32 v12, v105, v102
	v_add_f32_e32 v12, v12, v212
	v_sub_f32_e32 v15, v103, v151
	v_sub_f32_e32 v17, v213, v113
	v_add_f32_e32 v12, v12, v122
	v_add_f32_e32 v15, v15, v17
	;; [unrolled: 1-line block ×4, first 2 shown]
	v_fma_f32 v19, -0.5, v12, v105
	v_sub_f32_e32 v12, v151, v113
	v_mov_b32_e32 v113, v19
	v_fmac_f32_e32 v114, 0x3e9e377a, v15
	v_fmac_f32_e32 v104, 0x3e9e377a, v15
	;; [unrolled: 1-line block ×3, first 2 shown]
	v_sub_f32_e32 v14, v103, v213
	v_sub_f32_e32 v15, v102, v212
	;; [unrolled: 1-line block ×3, first 2 shown]
	v_fmac_f32_e32 v19, 0xbf737871, v12
	v_fmac_f32_e32 v113, 0x3f167918, v14
	v_add_f32_e32 v15, v15, v103
	v_fmac_f32_e32 v19, 0xbf167918, v14
	v_fmac_f32_e32 v113, 0x3e9e377a, v15
	;; [unrolled: 1-line block ×3, first 2 shown]
	v_add_f32_e32 v15, v102, v123
	v_fma_f32 v105, -0.5, v15, v105
	v_mov_b32_e32 v115, v105
	v_fmac_f32_e32 v115, 0xbf737871, v14
	v_fmac_f32_e32 v105, 0x3f737871, v14
	;; [unrolled: 1-line block ×4, first 2 shown]
	v_add_f32_e32 v12, v106, v125
	v_add_f32_e32 v12, v12, v129
	;; [unrolled: 1-line block ×5, first 2 shown]
	v_sub_f32_e32 v15, v212, v102
	v_sub_f32_e32 v102, v122, v123
	v_fma_f32 v122, -0.5, v12, v106
	v_add_f32_e32 v15, v15, v102
	v_sub_f32_e32 v12, v128, v216
	v_mov_b32_e32 v124, v122
	v_fmac_f32_e32 v115, 0x3e9e377a, v15
	v_fmac_f32_e32 v105, 0x3e9e377a, v15
	;; [unrolled: 1-line block ×3, first 2 shown]
	v_sub_f32_e32 v14, v214, v132
	v_sub_f32_e32 v15, v125, v129
	;; [unrolled: 1-line block ×3, first 2 shown]
	v_fmac_f32_e32 v122, 0x3f737871, v12
	v_fmac_f32_e32 v124, 0xbf167918, v14
	v_add_f32_e32 v15, v15, v102
	v_fmac_f32_e32 v122, 0x3f167918, v14
	v_fmac_f32_e32 v124, 0x3e9e377a, v15
	v_fmac_f32_e32 v122, 0x3e9e377a, v15
	v_add_f32_e32 v15, v125, v133
	v_fma_f32 v106, -0.5, v15, v106
	v_mov_b32_e32 v126, v106
	v_fmac_f32_e32 v126, 0x3f737871, v14
	v_fmac_f32_e32 v106, 0xbf737871, v14
	;; [unrolled: 1-line block ×4, first 2 shown]
	v_add_f32_e32 v12, v107, v128
	v_add_f32_e32 v12, v12, v214
	;; [unrolled: 1-line block ×5, first 2 shown]
	v_sub_f32_e32 v15, v129, v125
	v_sub_f32_e32 v102, v215, v133
	v_fma_f32 v123, -0.5, v12, v107
	v_add_f32_e32 v15, v15, v102
	v_sub_f32_e32 v12, v125, v133
	v_mov_b32_e32 v125, v123
	v_fmac_f32_e32 v126, 0x3e9e377a, v15
	v_fmac_f32_e32 v106, 0x3e9e377a, v15
	;; [unrolled: 1-line block ×3, first 2 shown]
	v_sub_f32_e32 v14, v129, v215
	v_sub_f32_e32 v15, v128, v214
	;; [unrolled: 1-line block ×3, first 2 shown]
	v_fmac_f32_e32 v123, 0xbf737871, v12
	v_fmac_f32_e32 v125, 0x3f167918, v14
	v_add_f32_e32 v15, v15, v102
	v_fmac_f32_e32 v123, 0xbf167918, v14
	v_fmac_f32_e32 v125, 0x3e9e377a, v15
	;; [unrolled: 1-line block ×3, first 2 shown]
	v_add_f32_e32 v15, v128, v216
	v_fmac_f32_e32 v107, -0.5, v15
	v_mov_b32_e32 v127, v107
	v_fmac_f32_e32 v127, 0xbf737871, v14
	v_fmac_f32_e32 v107, 0x3f737871, v14
	;; [unrolled: 1-line block ×4, first 2 shown]
	v_add_f32_e32 v12, v108, v217
	v_add_f32_e32 v12, v12, v220
	;; [unrolled: 1-line block ×3, first 2 shown]
	v_sub_f32_e32 v15, v214, v128
	v_add_f32_e32 v128, v12, v135
	v_add_f32_e32 v12, v220, v137
	v_sub_f32_e32 v102, v132, v216
	v_fma_f32 v130, -0.5, v12, v108
	v_add_f32_e32 v15, v15, v102
	v_sub_f32_e32 v12, v218, v143
	v_mov_b32_e32 v132, v130
	v_fmac_f32_e32 v127, 0x3e9e377a, v15
	v_fmac_f32_e32 v107, 0x3e9e377a, v15
	;; [unrolled: 1-line block ×3, first 2 shown]
	v_sub_f32_e32 v14, v136, v221
	v_sub_f32_e32 v15, v217, v220
	;; [unrolled: 1-line block ×3, first 2 shown]
	v_fmac_f32_e32 v130, 0x3f737871, v12
	v_fmac_f32_e32 v132, 0xbf167918, v14
	v_add_f32_e32 v15, v15, v102
	v_fmac_f32_e32 v130, 0x3f167918, v14
	v_fmac_f32_e32 v132, 0x3e9e377a, v15
	v_fmac_f32_e32 v130, 0x3e9e377a, v15
	v_add_f32_e32 v15, v217, v135
	v_fma_f32 v108, -0.5, v15, v108
	v_mov_b32_e32 v134, v108
	v_fmac_f32_e32 v134, 0x3f737871, v14
	v_fmac_f32_e32 v108, 0xbf737871, v14
	;; [unrolled: 1-line block ×4, first 2 shown]
	v_add_f32_e32 v12, v109, v218
	v_add_f32_e32 v12, v12, v136
	;; [unrolled: 1-line block ×5, first 2 shown]
	v_sub_f32_e32 v15, v220, v217
	v_sub_f32_e32 v102, v137, v135
	v_fma_f32 v131, -0.5, v12, v109
	v_add_f32_e32 v15, v15, v102
	v_sub_f32_e32 v12, v217, v135
	v_mov_b32_e32 v133, v131
	v_fmac_f32_e32 v134, 0x3e9e377a, v15
	v_fmac_f32_e32 v108, 0x3e9e377a, v15
	;; [unrolled: 1-line block ×3, first 2 shown]
	v_sub_f32_e32 v14, v220, v137
	v_sub_f32_e32 v15, v218, v136
	;; [unrolled: 1-line block ×3, first 2 shown]
	v_fmac_f32_e32 v131, 0xbf737871, v12
	v_fmac_f32_e32 v133, 0x3f167918, v14
	v_add_f32_e32 v15, v15, v102
	v_fmac_f32_e32 v131, 0xbf167918, v14
	v_fmac_f32_e32 v133, 0x3e9e377a, v15
	;; [unrolled: 1-line block ×3, first 2 shown]
	v_add_f32_e32 v15, v218, v143
	v_fma_f32 v109, -0.5, v15, v109
	v_mov_b32_e32 v135, v109
	v_fmac_f32_e32 v135, 0xbf737871, v14
	v_fmac_f32_e32 v109, 0x3f737871, v14
	;; [unrolled: 1-line block ×4, first 2 shown]
	v_add_f32_e32 v12, v110, v144
	v_add_f32_e32 v12, v12, v148
	;; [unrolled: 1-line block ×3, first 2 shown]
	v_sub_f32_e32 v15, v136, v218
	v_add_f32_e32 v136, v12, v202
	v_add_f32_e32 v12, v148, v223
	v_sub_f32_e32 v102, v221, v143
	v_fma_f32 v138, -0.5, v12, v110
	v_add_f32_e32 v15, v15, v102
	v_sub_f32_e32 v12, v147, v145
	v_mov_b32_e32 v140, v138
	v_fmac_f32_e32 v135, 0x3e9e377a, v15
	v_fmac_f32_e32 v109, 0x3e9e377a, v15
	;; [unrolled: 1-line block ×3, first 2 shown]
	v_sub_f32_e32 v14, v222, v201
	v_sub_f32_e32 v15, v144, v148
	;; [unrolled: 1-line block ×3, first 2 shown]
	v_fmac_f32_e32 v138, 0x3f737871, v12
	v_fmac_f32_e32 v140, 0xbf167918, v14
	v_add_f32_e32 v15, v15, v102
	v_fmac_f32_e32 v138, 0x3f167918, v14
	v_fmac_f32_e32 v140, 0x3e9e377a, v15
	;; [unrolled: 1-line block ×3, first 2 shown]
	v_add_f32_e32 v15, v144, v202
	v_fma_f32 v110, -0.5, v15, v110
	v_mov_b32_e32 v143, v110
	v_fmac_f32_e32 v143, 0x3f737871, v14
	v_fmac_f32_e32 v110, 0xbf737871, v14
	;; [unrolled: 1-line block ×4, first 2 shown]
	v_add_f32_e32 v12, v111, v147
	v_add_f32_e32 v12, v12, v222
	;; [unrolled: 1-line block ×5, first 2 shown]
	v_sub_f32_e32 v15, v148, v144
	v_sub_f32_e32 v102, v223, v202
	v_fma_f32 v139, -0.5, v12, v111
	v_add_f32_e32 v15, v15, v102
	v_sub_f32_e32 v12, v144, v202
	v_mov_b32_e32 v141, v139
	v_fmac_f32_e32 v143, 0x3e9e377a, v15
	v_fmac_f32_e32 v110, 0x3e9e377a, v15
	;; [unrolled: 1-line block ×3, first 2 shown]
	v_sub_f32_e32 v14, v148, v223
	v_sub_f32_e32 v15, v147, v222
	;; [unrolled: 1-line block ×3, first 2 shown]
	v_fmac_f32_e32 v139, 0xbf737871, v12
	v_fmac_f32_e32 v141, 0x3f167918, v14
	v_add_f32_e32 v15, v15, v102
	v_fmac_f32_e32 v139, 0xbf167918, v14
	v_fmac_f32_e32 v141, 0x3e9e377a, v15
	;; [unrolled: 1-line block ×3, first 2 shown]
	v_add_f32_e32 v15, v147, v145
	v_fmac_f32_e32 v111, -0.5, v15
	v_mov_b32_e32 v144, v111
	v_fmac_f32_e32 v144, 0xbf737871, v14
	v_fmac_f32_e32 v111, 0x3f737871, v14
	;; [unrolled: 1-line block ×4, first 2 shown]
	v_add_f32_e32 v12, v100, v224
	v_add_f32_e32 v12, v12, v150
	;; [unrolled: 1-line block ×3, first 2 shown]
	v_sub_f32_e32 v15, v222, v147
	v_sub_f32_e32 v102, v201, v145
	v_add_f32_e32 v145, v12, v13
	v_add_f32_e32 v12, v150, v226
	;; [unrolled: 1-line block ×3, first 2 shown]
	v_fma_f32 v102, -0.5, v12, v100
	v_fmac_f32_e32 v144, 0x3e9e377a, v15
	v_fmac_f32_e32 v111, 0x3e9e377a, v15
	v_sub_f32_e32 v15, v149, v204
	v_mov_b32_e32 v12, v102
	v_fmac_f32_e32 v12, 0xbf737871, v15
	v_sub_f32_e32 v103, v225, v203
	v_sub_f32_e32 v14, v224, v150
	;; [unrolled: 1-line block ×3, first 2 shown]
	v_fmac_f32_e32 v102, 0x3f737871, v15
	v_fmac_f32_e32 v12, 0xbf167918, v103
	v_add_f32_e32 v14, v14, v146
	v_fmac_f32_e32 v102, 0x3f167918, v103
	v_fmac_f32_e32 v12, 0x3e9e377a, v14
	;; [unrolled: 1-line block ×3, first 2 shown]
	v_add_f32_e32 v14, v224, v13
	v_fma_f32 v100, -0.5, v14, v100
	v_mov_b32_e32 v14, v100
	v_fmac_f32_e32 v14, 0x3f737871, v103
	v_fmac_f32_e32 v100, 0xbf737871, v103
	;; [unrolled: 1-line block ×4, first 2 shown]
	v_add_f32_e32 v15, v101, v149
	v_sub_f32_e32 v146, v150, v224
	v_sub_f32_e32 v147, v226, v13
	v_add_f32_e32 v15, v15, v225
	v_add_f32_e32 v146, v146, v147
	;; [unrolled: 1-line block ×3, first 2 shown]
	v_fmac_f32_e32 v14, 0x3e9e377a, v146
	v_fmac_f32_e32 v100, 0x3e9e377a, v146
	v_add_f32_e32 v146, v15, v204
	v_add_f32_e32 v15, v225, v203
	v_fma_f32 v103, -0.5, v15, v101
	v_sub_f32_e32 v147, v224, v13
	v_mov_b32_e32 v13, v103
	v_fmac_f32_e32 v13, 0x3f737871, v147
	v_sub_f32_e32 v148, v150, v226
	v_sub_f32_e32 v15, v149, v225
	;; [unrolled: 1-line block ×3, first 2 shown]
	v_fmac_f32_e32 v103, 0xbf737871, v147
	v_fmac_f32_e32 v13, 0x3f167918, v148
	v_add_f32_e32 v15, v15, v150
	v_fmac_f32_e32 v103, 0xbf167918, v148
	v_fmac_f32_e32 v13, 0x3e9e377a, v15
	;; [unrolled: 1-line block ×3, first 2 shown]
	v_add_f32_e32 v15, v149, v204
	v_fmac_f32_e32 v101, -0.5, v15
	v_mov_b32_e32 v15, v101
	v_fmac_f32_e32 v15, 0xbf737871, v148
	v_sub_f32_e32 v149, v225, v149
	v_sub_f32_e32 v150, v203, v204
	v_fmac_f32_e32 v101, 0x3f737871, v148
	v_fmac_f32_e32 v15, 0x3f167918, v147
	v_add_f32_e32 v149, v149, v150
	v_fmac_f32_e32 v101, 0xbf167918, v147
	v_fmac_f32_e32 v15, 0x3e9e377a, v149
	;; [unrolled: 1-line block ×3, first 2 shown]
	s_waitcnt lgkmcnt(0)
	; wave barrier
	ds_write2_b64 v249, v[16:17], v[112:113] offset1:8
	ds_write2_b64 v249, v[114:115], v[104:105] offset0:16 offset1:24
	ds_write_b64 v249, v[18:19] offset:256
	ds_write2_b64 v250, v[120:121], v[124:125] offset1:8
	ds_write2_b64 v250, v[126:127], v[106:107] offset0:16 offset1:24
	ds_write_b64 v250, v[122:123] offset:256
	;; [unrolled: 3-line block ×5, first 2 shown]
	s_waitcnt lgkmcnt(0)
	; wave barrier
	s_waitcnt lgkmcnt(0)
	ds_read2_b64 v[104:107], v209 offset1:56
	ds_read2_b64 v[16:19], v209 offset0:112 offset1:200
	ds_read2_b64 v[136:139], v119 offset0:144 offset1:200
	ds_read2_b64 v[112:115], v116 offset1:88
	ds_read2_b64 v[132:135], v118 offset0:32 offset1:88
	ds_read2_b64 v[108:111], v118 offset0:144 offset1:232
	;; [unrolled: 1-line block ×3, first 2 shown]
	ds_read2_b64 v[124:127], v119 offset1:56
	ds_read2_b64 v[120:123], v116 offset0:144 offset1:200
	ds_read2_b64 v[116:119], v117 offset0:32 offset1:88
	ds_read_b64 v[140:141], v209 offset:10496
	s_and_saveexec_b64 s[4:5], s[2:3]
	s_cbranch_execz .LBB0_35
; %bb.34:
	v_add_u32_e32 v56, 0x1100, v209
	ds_read2_b64 v[100:103], v56 offset0:24 offset1:224
	v_add_u32_e32 v56, 0x1e00, v209
	ds_read2_b64 v[12:15], v142 offset0:40 offset1:240
	ds_read2_b64 v[56:59], v56 offset0:8 offset1:208
	ds_read_b64 v[205:206], v209 offset:10944
.LBB0_35:
	s_or_b64 exec, exec, s[4:5]
	s_waitcnt lgkmcnt(9)
	v_mul_f32_e32 v142, v33, v19
	v_fmac_f32_e32 v142, v32, v18
	v_mul_f32_e32 v18, v33, v18
	s_waitcnt lgkmcnt(7)
	v_mul_f32_e32 v33, v25, v115
	v_mul_f32_e32 v25, v25, v114
	v_fmac_f32_e32 v33, v24, v114
	v_fma_f32 v24, v24, v115, -v25
	s_waitcnt lgkmcnt(6)
	v_mul_f32_e32 v25, v27, v133
	v_mul_f32_e32 v27, v27, v132
	v_fmac_f32_e32 v25, v26, v132
	v_fma_f32 v26, v26, v133, -v27
	s_waitcnt lgkmcnt(5)
	v_mul_f32_e32 v27, v21, v111
	v_mul_f32_e32 v21, v21, v110
	v_fma_f32 v18, v32, v19, -v18
	v_mul_f32_e32 v19, v35, v137
	v_mul_f32_e32 v32, v35, v136
	v_fmac_f32_e32 v27, v20, v110
	v_fma_f32 v20, v20, v111, -v21
	s_waitcnt lgkmcnt(4)
	v_mul_f32_e32 v21, v23, v129
	v_mul_f32_e32 v23, v23, v128
	v_fmac_f32_e32 v19, v34, v136
	v_fma_f32 v32, v34, v137, -v32
	v_fmac_f32_e32 v21, v22, v128
	v_fma_f32 v22, v22, v129, -v23
	s_waitcnt lgkmcnt(3)
	v_mul_f32_e32 v34, v41, v125
	v_mul_f32_e32 v23, v41, v124
	v_fmac_f32_e32 v34, v40, v124
	v_fma_f32 v35, v40, v125, -v23
	v_mul_f32_e32 v40, v43, v139
	v_mul_f32_e32 v23, v43, v138
	v_fmac_f32_e32 v40, v42, v138
	v_fma_f32 v41, v42, v139, -v23
	s_waitcnt lgkmcnt(2)
	v_mul_f32_e32 v42, v37, v121
	v_mul_f32_e32 v23, v37, v120
	v_fmac_f32_e32 v42, v36, v120
	v_fma_f32 v36, v36, v121, -v23
	v_mul_f32_e32 v37, v39, v135
	v_mul_f32_e32 v23, v39, v134
	v_fmac_f32_e32 v37, v38, v134
	v_fma_f32 v38, v38, v135, -v23
	s_waitcnt lgkmcnt(1)
	v_mul_f32_e32 v23, v29, v116
	v_fma_f32 v43, v28, v117, -v23
	v_mul_f32_e32 v23, v31, v130
	v_fma_f32 v111, v30, v131, -v23
	v_mul_f32_e32 v114, v49, v127
	v_mul_f32_e32 v23, v49, v126
	v_fmac_f32_e32 v114, v48, v126
	v_fma_f32 v48, v48, v127, -v23
	v_mul_f32_e32 v49, v51, v113
	v_mul_f32_e32 v23, v51, v112
	v_fmac_f32_e32 v49, v50, v112
	v_fma_f32 v50, v50, v113, -v23
	v_mul_f32_e32 v23, v45, v122
	v_fma_f32 v112, v44, v123, -v23
	v_mul_f32_e32 v113, v47, v109
	v_mul_f32_e32 v23, v47, v108
	v_fmac_f32_e32 v113, v46, v108
	v_fma_f32 v46, v46, v109, -v23
	v_mul_f32_e32 v47, v53, v119
	v_mul_f32_e32 v23, v53, v118
	v_mul_f32_e32 v39, v29, v117
	v_fmac_f32_e32 v47, v52, v118
	v_fma_f32 v52, v52, v119, -v23
	s_waitcnt lgkmcnt(0)
	v_mul_f32_e32 v53, v55, v141
	v_mul_f32_e32 v23, v55, v140
	v_fmac_f32_e32 v39, v28, v116
	v_mul_f32_e32 v110, v31, v131
	v_fmac_f32_e32 v53, v54, v140
	v_fma_f32 v54, v54, v141, -v23
	v_add_f32_e32 v23, v142, v21
	v_add_f32_e32 v28, v18, v22
	v_sub_f32_e32 v18, v18, v22
	v_add_f32_e32 v22, v19, v27
	v_fmac_f32_e32 v110, v30, v130
	v_add_f32_e32 v29, v32, v20
	v_sub_f32_e32 v19, v19, v27
	v_sub_f32_e32 v20, v32, v20
	v_add_f32_e32 v27, v33, v25
	v_add_f32_e32 v30, v24, v26
	v_sub_f32_e32 v24, v26, v24
	v_add_f32_e32 v26, v22, v23
	v_mul_f32_e32 v51, v45, v123
	v_sub_f32_e32 v25, v25, v33
	v_add_f32_e32 v31, v29, v28
	v_add_f32_e32 v45, v24, v20
	;; [unrolled: 1-line block ×3, first 2 shown]
	v_sub_f32_e32 v21, v142, v21
	v_sub_f32_e32 v32, v22, v23
	;; [unrolled: 1-line block ×11, first 2 shown]
	v_add_f32_e32 v27, v30, v31
	v_add_f32_e32 v30, v45, v18
	;; [unrolled: 1-line block ×3, first 2 shown]
	v_fmac_f32_e32 v51, v44, v122
	v_add_f32_e32 v44, v25, v19
	v_sub_f32_e32 v109, v19, v21
	v_add_f32_e32 v19, v105, v27
	v_mul_f32_e32 v45, 0x3f08b237, v55
	v_mul_f32_e32 v55, 0x3f08b237, v108
	v_mov_b32_e32 v108, v18
	v_sub_f32_e32 v25, v21, v25
	v_add_f32_e32 v21, v44, v21
	v_mul_f32_e32 v23, 0x3f4a47b2, v23
	v_mul_f32_e32 v28, 0x3f4a47b2, v28
	;; [unrolled: 1-line block ×4, first 2 shown]
	s_mov_b32 s12, 0xbf5ff5aa
	v_mul_f32_e32 v104, 0xbf5ff5aa, v109
	v_fmac_f32_e32 v108, 0xbf955555, v26
	v_mov_b32_e32 v26, v19
	s_mov_b32 s13, 0x3f3bfb3b
	s_mov_b32 s14, 0xbf3bfb3b
	;; [unrolled: 1-line block ×3, first 2 shown]
	v_mul_f32_e32 v105, 0xbf5ff5aa, v20
	v_fmac_f32_e32 v26, 0xbf955555, v27
	v_fma_f32 v27, v32, s13, -v31
	v_fma_f32 v31, v33, s13, -v44
	;; [unrolled: 1-line block ×3, first 2 shown]
	v_fmac_f32_e32 v23, 0x3d64c772, v22
	v_fma_f32 v22, v33, s14, -v28
	v_fmac_f32_e32 v28, 0x3d64c772, v29
	v_fma_f32 v29, v109, s12, -v45
	v_fma_f32 v33, v20, s12, -v55
	;; [unrolled: 1-line block ×3, first 2 shown]
	v_fmac_f32_e32 v45, 0xbeae86e6, v25
	v_fma_f32 v104, v24, s15, -v105
	v_add_f32_e32 v109, v28, v26
	v_add_f32_e32 v27, v27, v108
	;; [unrolled: 1-line block ×5, first 2 shown]
	v_fmac_f32_e32 v29, 0xbee1c552, v21
	v_fmac_f32_e32 v33, 0xbee1c552, v30
	v_fmac_f32_e32 v44, 0xbee1c552, v21
	v_fmac_f32_e32 v55, 0xbeae86e6, v24
	v_add_f32_e32 v105, v23, v108
	v_fmac_f32_e32 v45, 0xbee1c552, v21
	v_fmac_f32_e32 v104, 0xbee1c552, v30
	v_sub_f32_e32 v23, v32, v44
	v_sub_f32_e32 v24, v27, v33
	v_add_f32_e32 v25, v29, v28
	v_add_f32_e32 v26, v33, v27
	v_sub_f32_e32 v27, v28, v29
	v_add_f32_e32 v29, v44, v32
	v_add_f32_e32 v32, v34, v110
	;; [unrolled: 1-line block ×3, first 2 shown]
	v_fmac_f32_e32 v55, 0xbee1c552, v30
	v_sub_f32_e32 v21, v109, v45
	v_add_f32_e32 v22, v104, v31
	v_sub_f32_e32 v28, v31, v104
	v_add_f32_e32 v31, v45, v109
	v_add_f32_e32 v33, v35, v111
	;; [unrolled: 1-line block ×3, first 2 shown]
	v_sub_f32_e32 v39, v40, v39
	v_sub_f32_e32 v40, v41, v43
	v_add_f32_e32 v41, v42, v37
	v_add_f32_e32 v43, v36, v38
	v_sub_f32_e32 v37, v37, v42
	v_sub_f32_e32 v36, v38, v36
	v_add_f32_e32 v38, v44, v32
	v_add_f32_e32 v20, v55, v105
	v_sub_f32_e32 v30, v105, v55
	v_sub_f32_e32 v34, v34, v110
	v_add_f32_e32 v42, v45, v33
	v_sub_f32_e32 v55, v44, v32
	v_sub_f32_e32 v105, v32, v41
	v_add_f32_e32 v32, v37, v39
	v_add_f32_e32 v38, v41, v38
	v_sub_f32_e32 v35, v35, v111
	v_sub_f32_e32 v104, v45, v33
	;; [unrolled: 1-line block ×4, first 2 shown]
	v_add_f32_e32 v33, v36, v40
	v_sub_f32_e32 v109, v37, v39
	v_sub_f32_e32 v37, v34, v37
	;; [unrolled: 1-line block ×3, first 2 shown]
	v_add_f32_e32 v41, v43, v42
	v_add_f32_e32 v34, v32, v34
	;; [unrolled: 1-line block ×3, first 2 shown]
	v_sub_f32_e32 v45, v43, v45
	v_sub_f32_e32 v110, v36, v40
	;; [unrolled: 1-line block ×4, first 2 shown]
	v_add_f32_e32 v35, v33, v35
	v_add_f32_e32 v33, v107, v41
	v_mov_b32_e32 v111, v32
	v_mul_f32_e32 v42, 0x3f4a47b2, v105
	v_mul_f32_e32 v43, 0x3f4a47b2, v108
	;; [unrolled: 1-line block ×8, first 2 shown]
	v_fmac_f32_e32 v111, 0xbf955555, v38
	v_mov_b32_e32 v38, v33
	v_fmac_f32_e32 v38, 0xbf955555, v41
	v_fma_f32 v41, v55, s13, -v105
	v_fma_f32 v105, v104, s13, -v106
	;; [unrolled: 1-line block ×3, first 2 shown]
	v_fmac_f32_e32 v42, 0x3d64c772, v44
	v_fma_f32 v44, v104, s14, -v43
	v_fmac_f32_e32 v43, 0x3d64c772, v45
	v_fma_f32 v45, v39, s12, -v107
	v_fma_f32 v40, v40, s12, -v108
	;; [unrolled: 1-line block ×4, first 2 shown]
	v_add_f32_e32 v109, v42, v111
	v_add_f32_e32 v110, v43, v38
	v_add_f32_e32 v41, v41, v111
	v_add_f32_e32 v42, v105, v38
	v_add_f32_e32 v43, v55, v111
	v_add_f32_e32 v44, v44, v38
	v_fmac_f32_e32 v45, 0xbee1c552, v34
	v_fmac_f32_e32 v40, 0xbee1c552, v35
	;; [unrolled: 1-line block ×6, first 2 shown]
	v_add_f32_e32 v36, v106, v43
	v_sub_f32_e32 v37, v44, v104
	v_sub_f32_e32 v38, v41, v40
	v_add_f32_e32 v39, v45, v42
	v_add_f32_e32 v40, v40, v41
	v_sub_f32_e32 v41, v42, v45
	v_sub_f32_e32 v42, v43, v106
	v_add_f32_e32 v43, v104, v44
	v_add_f32_e32 v55, v114, v53
	;; [unrolled: 1-line block ×3, first 2 shown]
	v_sub_f32_e32 v48, v48, v54
	v_add_f32_e32 v54, v49, v47
	v_fmac_f32_e32 v107, 0xbee1c552, v34
	v_fmac_f32_e32 v108, 0xbee1c552, v35
	v_add_f32_e32 v105, v50, v52
	v_sub_f32_e32 v47, v49, v47
	v_sub_f32_e32 v49, v50, v52
	v_add_f32_e32 v50, v51, v113
	v_add_f32_e32 v106, v54, v55
	;; [unrolled: 1-line block ×3, first 2 shown]
	v_sub_f32_e32 v35, v110, v107
	v_sub_f32_e32 v44, v109, v108
	v_add_f32_e32 v45, v107, v110
	v_add_f32_e32 v52, v112, v46
	;; [unrolled: 1-line block ×3, first 2 shown]
	v_sub_f32_e32 v108, v54, v55
	v_sub_f32_e32 v55, v55, v50
	;; [unrolled: 1-line block ×3, first 2 shown]
	v_add_f32_e32 v50, v50, v106
	v_sub_f32_e32 v53, v114, v53
	v_sub_f32_e32 v51, v113, v51
	;; [unrolled: 1-line block ×6, first 2 shown]
	v_add_f32_e32 v52, v52, v107
	v_add_f32_e32 v16, v16, v50
	;; [unrolled: 1-line block ×4, first 2 shown]
	v_sub_f32_e32 v112, v51, v47
	v_sub_f32_e32 v113, v46, v49
	;; [unrolled: 1-line block ×4, first 2 shown]
	v_add_f32_e32 v17, v17, v52
	v_mov_b32_e32 v114, v16
	v_sub_f32_e32 v51, v53, v51
	v_sub_f32_e32 v46, v48, v46
	v_add_f32_e32 v53, v110, v53
	v_add_f32_e32 v48, v111, v48
	v_mul_f32_e32 v55, 0x3f4a47b2, v55
	v_mul_f32_e32 v104, 0x3f4a47b2, v104
	;; [unrolled: 1-line block ×8, first 2 shown]
	v_fmac_f32_e32 v114, 0xbf955555, v50
	v_mov_b32_e32 v50, v17
	v_fmac_f32_e32 v50, 0xbf955555, v52
	v_fma_f32 v52, v108, s13, -v106
	v_fma_f32 v106, v109, s13, -v107
	;; [unrolled: 1-line block ×3, first 2 shown]
	v_fmac_f32_e32 v55, 0x3d64c772, v54
	v_fma_f32 v54, v109, s14, -v104
	v_fmac_f32_e32 v104, 0x3d64c772, v105
	v_fma_f32 v105, v47, s12, -v110
	;; [unrolled: 2-line block ×4, first 2 shown]
	v_fma_f32 v112, v46, s15, -v113
	v_add_f32_e32 v113, v55, v114
	v_add_f32_e32 v115, v104, v50
	;; [unrolled: 1-line block ×6, first 2 shown]
	v_fmac_f32_e32 v110, 0xbee1c552, v53
	v_fmac_f32_e32 v111, 0xbee1c552, v48
	;; [unrolled: 1-line block ×6, first 2 shown]
	v_add_f32_e32 v46, v111, v113
	v_sub_f32_e32 v47, v115, v110
	v_add_f32_e32 v48, v112, v104
	v_sub_f32_e32 v49, v106, v109
	v_sub_f32_e32 v50, v52, v108
	v_add_f32_e32 v51, v105, v55
	v_add_f32_e32 v52, v108, v52
	v_sub_f32_e32 v53, v55, v105
	v_sub_f32_e32 v54, v104, v112
	v_add_f32_e32 v55, v109, v106
	v_sub_f32_e32 v104, v113, v111
	v_add_f32_e32 v105, v110, v115
	s_waitcnt lgkmcnt(0)
	; wave barrier
	ds_write2_b64 v254, v[18:19], v[20:21] offset1:40
	ds_write2_b64 v254, v[22:23], v[24:25] offset0:80 offset1:120
	ds_write2_b64 v254, v[26:27], v[28:29] offset0:160 offset1:200
	ds_write_b64 v254, v[30:31] offset:1920
	ds_write2_b64 v255, v[32:33], v[34:35] offset1:40
	ds_write2_b64 v255, v[36:37], v[38:39] offset0:80 offset1:120
	ds_write2_b64 v255, v[40:41], v[42:43] offset0:160 offset1:200
	ds_write_b64 v255, v[44:45] offset:1920
	;; [unrolled: 4-line block ×3, first 2 shown]
	s_and_saveexec_b64 s[4:5], s[2:3]
	s_cbranch_execz .LBB0_37
; %bb.36:
	v_mul_f32_e32 v16, v1, v15
	v_mul_f32_e32 v17, v7, v206
	;; [unrolled: 1-line block ×4, first 2 shown]
	v_fmac_f32_e32 v16, v0, v14
	v_fmac_f32_e32 v17, v6, v205
	v_mul_f32_e32 v20, v9, v103
	v_fma_f32 v6, v6, v206, -v7
	v_fma_f32 v7, v0, v15, -v1
	v_mul_f32_e32 v0, v9, v102
	v_fmac_f32_e32 v20, v8, v102
	v_fma_f32 v8, v8, v103, -v0
	v_mul_f32_e32 v0, v11, v56
	v_fma_f32 v9, v10, v57, -v0
	v_add_f32_e32 v14, v6, v7
	v_add_f32_e32 v0, v9, v8
	v_mul_f32_e32 v19, v11, v57
	v_sub_f32_e32 v1, v14, v0
	v_fmac_f32_e32 v19, v10, v56
	v_mul_f32_e32 v24, v5, v59
	v_mul_f32_e32 v10, 0x3f4a47b2, v1
	;; [unrolled: 1-line block ×4, first 2 shown]
	v_fmac_f32_e32 v24, v4, v58
	v_fma_f32 v4, v4, v59, -v1
	v_mul_f32_e32 v1, v3, v100
	v_fmac_f32_e32 v23, v2, v100
	v_fma_f32 v2, v2, v101, -v1
	v_add_f32_e32 v5, v4, v2
	v_sub_f32_e32 v1, v0, v5
	v_mov_b32_e32 v3, v10
	v_mul_f32_e32 v11, 0x3d64c772, v1
	v_fmac_f32_e32 v3, 0x3d64c772, v1
	v_add_f32_e32 v1, v5, v14
	v_add_f32_e32 v0, v0, v1
	;; [unrolled: 1-line block ×3, first 2 shown]
	v_mov_b32_e32 v13, v1
	v_sub_f32_e32 v18, v16, v17
	v_fmac_f32_e32 v13, 0xbf955555, v0
	v_add_f32_e32 v16, v17, v16
	v_add_f32_e32 v0, v19, v20
	v_sub_f32_e32 v17, v16, v0
	v_sub_f32_e32 v21, v19, v20
	v_mul_f32_e32 v17, 0x3f4a47b2, v17
	v_add_f32_e32 v19, v24, v23
	v_sub_f32_e32 v25, v23, v24
	v_sub_f32_e32 v20, v0, v19
	v_mov_b32_e32 v24, v17
	v_mul_f32_e32 v23, 0x3d64c772, v20
	v_fmac_f32_e32 v24, 0x3d64c772, v20
	v_add_f32_e32 v20, v19, v16
	v_add_f32_e32 v20, v0, v20
	v_sub_f32_e32 v6, v7, v6
	v_sub_f32_e32 v7, v9, v8
	;; [unrolled: 1-line block ×3, first 2 shown]
	v_add_f32_e32 v0, v12, v20
	v_sub_f32_e32 v2, v7, v4
	v_mov_b32_e32 v12, v0
	v_mul_f32_e32 v9, 0x3f08b237, v2
	v_add_f32_e32 v2, v7, v4
	v_sub_f32_e32 v26, v21, v25
	v_fmac_f32_e32 v12, 0xbf955555, v20
	v_sub_f32_e32 v8, v6, v7
	v_add_f32_e32 v28, v2, v6
	v_sub_f32_e32 v6, v4, v6
	v_mul_f32_e32 v26, 0x3f08b237, v26
	v_add_f32_e32 v20, v24, v12
	v_mov_b32_e32 v24, v9
	v_sub_f32_e32 v14, v5, v14
	v_mul_f32_e32 v4, 0xbf5ff5aa, v6
	v_sub_f32_e32 v22, v18, v21
	v_mov_b32_e32 v27, v26
	v_add_f32_e32 v21, v21, v25
	v_fmac_f32_e32 v24, 0xbeae86e6, v8
	v_sub_f32_e32 v7, v25, v18
	v_fma_f32 v5, v14, s14, -v10
	v_sub_f32_e32 v16, v19, v16
	v_fma_f32 v19, v8, s15, -v4
	v_fma_f32 v8, v14, s13, -v11
	v_fmac_f32_e32 v27, 0xbeae86e6, v22
	v_add_f32_e32 v21, v21, v18
	v_add_f32_e32 v15, v3, v13
	;; [unrolled: 1-line block ×3, first 2 shown]
	v_fma_f32 v17, v16, s14, -v17
	v_add_f32_e32 v8, v8, v13
	v_fma_f32 v11, v7, s12, -v26
	v_fma_f32 v13, v6, s12, -v9
	;; [unrolled: 1-line block ×3, first 2 shown]
	v_fmac_f32_e32 v27, 0xbee1c552, v21
	v_add_f32_e32 v17, v17, v12
	v_fmac_f32_e32 v11, 0xbee1c552, v21
	v_fmac_f32_e32 v13, 0xbee1c552, v28
	v_add_f32_e32 v12, v6, v12
	v_add_f32_e32 v3, v27, v15
	v_mul_f32_e32 v18, 0xbf5ff5aa, v7
	v_sub_f32_e32 v7, v8, v11
	v_add_f32_e32 v6, v13, v12
	v_add_f32_e32 v9, v11, v8
	v_sub_f32_e32 v8, v12, v13
	v_sub_f32_e32 v13, v15, v27
	buffer_load_dword v15, off, s[20:23], 0 offset:96 ; 4-byte Folded Reload
	v_mov_b32_e32 v14, 3
	v_fmac_f32_e32 v24, 0xbee1c552, v28
	v_fma_f32 v18, v22, s15, -v18
	v_fmac_f32_e32 v18, 0xbee1c552, v21
	v_fmac_f32_e32 v19, 0xbee1c552, v28
	v_add_f32_e32 v12, v24, v20
	v_add_f32_e32 v5, v18, v10
	v_sub_f32_e32 v4, v17, v19
	v_sub_f32_e32 v11, v10, v18
	v_add_f32_e32 v10, v19, v17
	v_sub_f32_e32 v2, v20, v24
	s_waitcnt vmcnt(0)
	v_lshlrev_b32_sdwa v14, v14, v15 dst_sel:DWORD dst_unused:UNUSED_PAD src0_sel:DWORD src1_sel:BYTE_0
	v_add_u32_e32 v15, 0x2000, v14
	ds_write2_b64 v15, v[0:1], v[12:13] offset0:96 offset1:136
	ds_write2_b64 v15, v[10:11], v[8:9] offset0:176 offset1:216
	v_add_u32_e32 v0, 0x2800, v14
	ds_write2_b64 v0, v[6:7], v[4:5] offset1:40
	ds_write_b64 v14, v[2:3] offset:10880
.LBB0_37:
	s_or_b64 exec, exec, s[4:5]
	v_add_u32_e32 v19, 0x400, v209
	s_waitcnt lgkmcnt(0)
	; wave barrier
	s_waitcnt lgkmcnt(0)
	ds_read2_b64 v[0:3], v19 offset0:96 offset1:152
	v_add_u32_e32 v14, 0x1000, v209
	ds_read2_b64 v[20:23], v14 offset0:48 offset1:104
	v_add_u32_e32 v18, 0x1800, v209
	;; [unrolled: 2-line block ×3, first 2 shown]
	ds_read2_b64 v[28:31], v16 offset0:96 offset1:152
	s_waitcnt lgkmcnt(3)
	v_mul_f32_e32 v58, v65, v3
	v_fmac_f32_e32 v58, v64, v2
	v_mul_f32_e32 v2, v65, v2
	v_add_u32_e32 v17, 0x800, v209
	v_fma_f32 v59, v64, v3, -v2
	s_waitcnt lgkmcnt(2)
	v_mul_f32_e32 v64, v67, v21
	v_mul_f32_e32 v2, v67, v20
	ds_read2_b64 v[4:7], v209 offset1:56
	ds_read2_b64 v[32:35], v17 offset0:80 offset1:136
	ds_read2_b64 v[36:39], v18 offset0:128 offset1:184
	;; [unrolled: 1-line block ×4, first 2 shown]
	v_fmac_f32_e32 v64, v66, v20
	v_fma_f32 v65, v66, v21, -v2
	s_waitcnt lgkmcnt(6)
	v_mul_f32_e32 v66, v61, v27
	v_mul_f32_e32 v2, v61, v26
	v_fmac_f32_e32 v66, v60, v26
	v_fma_f32 v26, v60, v27, -v2
	s_waitcnt lgkmcnt(5)
	v_mul_f32_e32 v27, v63, v29
	v_mul_f32_e32 v2, v63, v28
	v_fmac_f32_e32 v27, v62, v28
	v_fma_f32 v28, v62, v29, -v2
	s_waitcnt lgkmcnt(3)
	v_mul_f32_e32 v2, v73, v32
	v_fma_f32 v61, v72, v33, -v2
	v_mul_f32_e32 v2, v75, v22
	v_add_u32_e32 v15, 0x2400, v209
	v_fma_f32 v62, v74, v23, -v2
	s_waitcnt lgkmcnt(2)
	v_mul_f32_e32 v63, v69, v37
	v_mul_f32_e32 v2, v69, v36
	ds_read2_b64 v[44:47], v15 offset0:80 offset1:136
	ds_read2_b64 v[48:51], v17 offset0:192 offset1:248
	v_fmac_f32_e32 v63, v68, v36
	v_fma_f32 v36, v68, v37, -v2
	v_mul_f32_e32 v2, v71, v30
	v_fma_f32 v67, v70, v31, -v2
	v_mul_f32_e32 v2, v81, v34
	v_add_u32_e32 v52, 0x1c00, v209
	v_fma_f32 v69, v80, v35, -v2
	s_waitcnt lgkmcnt(2)
	v_mul_f32_e32 v2, v83, v40
	ds_read2_b64 v[52:55], v52 offset0:112 offset1:168
	ds_read_b64 v[56:57], v209 offset:10752
	v_mul_f32_e32 v60, v73, v33
	v_mul_f32_e32 v37, v71, v31
	v_fma_f32 v71, v82, v41, -v2
	v_mul_f32_e32 v2, v77, v38
	v_fmac_f32_e32 v60, v72, v32
	v_fmac_f32_e32 v37, v70, v30
	v_mul_f32_e32 v70, v83, v41
	v_mul_f32_e32 v41, v77, v39
	v_fma_f32 v72, v76, v39, -v2
	s_waitcnt lgkmcnt(3)
	v_mul_f32_e32 v39, v79, v45
	v_mul_f32_e32 v2, v79, v44
	;; [unrolled: 1-line block ×3, first 2 shown]
	v_fmac_f32_e32 v39, v78, v44
	v_fma_f32 v44, v78, v45, -v2
	s_waitcnt lgkmcnt(2)
	v_mul_f32_e32 v2, v89, v48
	v_fmac_f32_e32 v33, v74, v22
	v_fma_f32 v74, v88, v49, -v2
	v_mul_f32_e32 v2, v91, v42
	v_fmac_f32_e32 v41, v76, v38
	v_fma_f32 v75, v90, v43, -v2
	s_waitcnt lgkmcnt(1)
	v_mul_f32_e32 v76, v85, v53
	v_mul_f32_e32 v2, v85, v52
	v_add_f32_e32 v3, v64, v66
	v_mul_f32_e32 v68, v81, v35
	v_fmac_f32_e32 v76, v84, v52
	v_fma_f32 v52, v84, v53, -v2
	v_mul_f32_e32 v2, v87, v46
	v_fma_f32 v20, -0.5, v3, v4
	v_fmac_f32_e32 v68, v80, v34
	v_fma_f32 v77, v86, v47, -v2
	v_mul_f32_e32 v2, v97, v50
	v_mul_f32_e32 v80, v99, v25
	v_sub_f32_e32 v3, v59, v28
	v_mov_b32_e32 v22, v20
	v_fma_f32 v79, v96, v51, -v2
	v_fmac_f32_e32 v80, v98, v24
	v_mul_f32_e32 v2, v99, v24
	v_fmac_f32_e32 v22, 0xbf737871, v3
	v_sub_f32_e32 v21, v65, v26
	v_sub_f32_e32 v23, v58, v64
	;; [unrolled: 1-line block ×3, first 2 shown]
	v_fmac_f32_e32 v20, 0x3f737871, v3
	v_fma_f32 v81, v98, v25, -v2
	v_mul_f32_e32 v2, v93, v54
	v_fmac_f32_e32 v22, 0xbf167918, v21
	v_add_f32_e32 v23, v23, v24
	v_fmac_f32_e32 v20, 0x3f167918, v21
	v_fma_f32 v83, v92, v55, -v2
	s_waitcnt lgkmcnt(0)
	v_mul_f32_e32 v2, v95, v56
	v_fmac_f32_e32 v22, 0x3e9e377a, v23
	v_fmac_f32_e32 v20, 0x3e9e377a, v23
	v_add_f32_e32 v23, v58, v27
	v_fma_f32 v84, v94, v57, -v2
	v_add_f32_e32 v2, v4, v58
	v_fma_f32 v4, -0.5, v23, v4
	v_mov_b32_e32 v24, v4
	v_add_f32_e32 v2, v2, v64
	v_fmac_f32_e32 v24, 0x3f737871, v21
	v_sub_f32_e32 v23, v64, v58
	v_sub_f32_e32 v25, v66, v27
	v_fmac_f32_e32 v4, 0xbf737871, v21
	v_add_f32_e32 v21, v65, v26
	v_add_f32_e32 v2, v2, v66
	v_fmac_f32_e32 v24, 0xbf167918, v3
	v_add_f32_e32 v23, v23, v25
	v_fmac_f32_e32 v4, 0x3f167918, v3
	v_fma_f32 v21, -0.5, v21, v5
	v_add_f32_e32 v2, v2, v27
	v_fmac_f32_e32 v24, 0x3e9e377a, v23
	v_fmac_f32_e32 v4, 0x3e9e377a, v23
	v_sub_f32_e32 v27, v58, v27
	v_mov_b32_e32 v23, v21
	v_fmac_f32_e32 v23, 0x3f737871, v27
	v_sub_f32_e32 v29, v64, v66
	v_sub_f32_e32 v25, v59, v65
	;; [unrolled: 1-line block ×3, first 2 shown]
	v_fmac_f32_e32 v21, 0xbf737871, v27
	v_fmac_f32_e32 v23, 0x3f167918, v29
	v_add_f32_e32 v25, v25, v30
	v_fmac_f32_e32 v21, 0xbf167918, v29
	v_fmac_f32_e32 v23, 0x3e9e377a, v25
	;; [unrolled: 1-line block ×3, first 2 shown]
	v_add_f32_e32 v25, v59, v28
	v_add_f32_e32 v3, v5, v59
	v_fma_f32 v5, -0.5, v25, v5
	v_mov_b32_e32 v25, v5
	v_add_f32_e32 v3, v3, v65
	v_fmac_f32_e32 v25, 0xbf737871, v29
	v_fmac_f32_e32 v5, 0x3f737871, v29
	v_add_f32_e32 v3, v3, v26
	v_fmac_f32_e32 v25, 0x3f167918, v27
	v_fmac_f32_e32 v5, 0xbf167918, v27
	v_add_f32_e32 v27, v33, v63
	v_add_f32_e32 v3, v3, v28
	v_sub_f32_e32 v30, v65, v59
	v_sub_f32_e32 v26, v26, v28
	v_fma_f32 v28, -0.5, v27, v6
	v_add_f32_e32 v26, v30, v26
	v_sub_f32_e32 v27, v61, v67
	v_mov_b32_e32 v30, v28
	v_fmac_f32_e32 v30, 0xbf737871, v27
	v_sub_f32_e32 v29, v62, v36
	v_sub_f32_e32 v31, v60, v33
	;; [unrolled: 1-line block ×3, first 2 shown]
	v_fmac_f32_e32 v28, 0x3f737871, v27
	v_fmac_f32_e32 v30, 0xbf167918, v29
	v_add_f32_e32 v31, v31, v32
	v_fmac_f32_e32 v28, 0x3f167918, v29
	v_fmac_f32_e32 v30, 0x3e9e377a, v31
	;; [unrolled: 1-line block ×3, first 2 shown]
	v_add_f32_e32 v31, v60, v37
	v_fmac_f32_e32 v25, 0x3e9e377a, v26
	v_fmac_f32_e32 v5, 0x3e9e377a, v26
	v_add_f32_e32 v26, v6, v60
	v_fma_f32 v6, -0.5, v31, v6
	v_mov_b32_e32 v32, v6
	v_fmac_f32_e32 v32, 0x3f737871, v29
	v_sub_f32_e32 v31, v33, v60
	v_sub_f32_e32 v34, v63, v37
	v_fmac_f32_e32 v6, 0xbf737871, v29
	v_add_f32_e32 v29, v62, v36
	v_add_f32_e32 v26, v26, v33
	v_fmac_f32_e32 v32, 0xbf167918, v27
	v_add_f32_e32 v31, v31, v34
	v_fmac_f32_e32 v6, 0x3f167918, v27
	v_fma_f32 v29, -0.5, v29, v7
	v_add_f32_e32 v26, v26, v63
	v_fmac_f32_e32 v32, 0x3e9e377a, v31
	v_fmac_f32_e32 v6, 0x3e9e377a, v31
	v_sub_f32_e32 v34, v60, v37
	v_mov_b32_e32 v31, v29
	v_add_f32_e32 v26, v26, v37
	v_fmac_f32_e32 v31, 0x3f737871, v34
	v_sub_f32_e32 v35, v33, v63
	v_sub_f32_e32 v33, v61, v62
	;; [unrolled: 1-line block ×3, first 2 shown]
	v_fmac_f32_e32 v29, 0xbf737871, v34
	v_fmac_f32_e32 v31, 0x3f167918, v35
	v_add_f32_e32 v33, v33, v37
	v_fmac_f32_e32 v29, 0xbf167918, v35
	v_fmac_f32_e32 v31, 0x3e9e377a, v33
	;; [unrolled: 1-line block ×3, first 2 shown]
	v_add_f32_e32 v33, v61, v67
	v_add_f32_e32 v27, v7, v61
	v_fmac_f32_e32 v7, -0.5, v33
	v_add_f32_e32 v27, v27, v62
	v_mov_b32_e32 v33, v7
	v_fmac_f32_e32 v70, v82, v40
	v_add_f32_e32 v27, v27, v36
	v_fmac_f32_e32 v33, 0xbf737871, v35
	v_sub_f32_e32 v37, v62, v61
	v_sub_f32_e32 v36, v36, v67
	v_fmac_f32_e32 v7, 0x3f737871, v35
	v_fmac_f32_e32 v33, 0x3f167918, v34
	v_add_f32_e32 v36, v37, v36
	v_fmac_f32_e32 v7, 0xbf167918, v34
	v_add_f32_e32 v35, v70, v41
	v_fmac_f32_e32 v33, 0x3e9e377a, v36
	v_fmac_f32_e32 v7, 0x3e9e377a, v36
	v_fma_f32 v36, -0.5, v35, v8
	v_mul_f32_e32 v73, v89, v49
	v_mul_f32_e32 v49, v91, v43
	v_sub_f32_e32 v35, v69, v44
	v_mov_b32_e32 v38, v36
	v_fmac_f32_e32 v49, v90, v42
	v_fmac_f32_e32 v38, 0xbf737871, v35
	v_sub_f32_e32 v37, v71, v72
	v_sub_f32_e32 v40, v68, v70
	v_sub_f32_e32 v42, v39, v41
	v_fmac_f32_e32 v36, 0x3f737871, v35
	v_fmac_f32_e32 v38, 0xbf167918, v37
	v_add_f32_e32 v40, v40, v42
	v_fmac_f32_e32 v36, 0x3f167918, v37
	v_fmac_f32_e32 v38, 0x3e9e377a, v40
	;; [unrolled: 1-line block ×3, first 2 shown]
	v_add_f32_e32 v40, v68, v39
	v_add_f32_e32 v34, v8, v68
	v_fma_f32 v8, -0.5, v40, v8
	v_mov_b32_e32 v40, v8
	v_add_f32_e32 v34, v34, v70
	v_fmac_f32_e32 v40, 0x3f737871, v37
	v_sub_f32_e32 v42, v70, v68
	v_sub_f32_e32 v43, v41, v39
	v_fmac_f32_e32 v8, 0xbf737871, v37
	v_add_f32_e32 v37, v71, v72
	v_add_f32_e32 v34, v34, v41
	v_fmac_f32_e32 v40, 0xbf167918, v35
	v_add_f32_e32 v42, v42, v43
	v_fmac_f32_e32 v8, 0x3f167918, v35
	v_fma_f32 v37, -0.5, v37, v9
	v_add_f32_e32 v34, v34, v39
	v_fmac_f32_e32 v40, 0x3e9e377a, v42
	v_fmac_f32_e32 v8, 0x3e9e377a, v42
	v_sub_f32_e32 v42, v68, v39
	v_mov_b32_e32 v39, v37
	v_fmac_f32_e32 v39, 0x3f737871, v42
	v_sub_f32_e32 v43, v70, v41
	v_sub_f32_e32 v41, v69, v71
	;; [unrolled: 1-line block ×3, first 2 shown]
	v_fmac_f32_e32 v37, 0xbf737871, v42
	v_fmac_f32_e32 v39, 0x3f167918, v43
	v_add_f32_e32 v41, v41, v45
	v_fmac_f32_e32 v37, 0xbf167918, v43
	v_add_f32_e32 v35, v9, v69
	v_fmac_f32_e32 v39, 0x3e9e377a, v41
	v_fmac_f32_e32 v37, 0x3e9e377a, v41
	v_add_f32_e32 v41, v69, v44
	v_add_f32_e32 v35, v35, v71
	v_fma_f32 v9, -0.5, v41, v9
	v_add_f32_e32 v35, v35, v72
	v_mov_b32_e32 v41, v9
	v_add_f32_e32 v35, v35, v44
	v_fmac_f32_e32 v41, 0xbf737871, v43
	v_sub_f32_e32 v45, v71, v69
	v_sub_f32_e32 v44, v72, v44
	v_fmac_f32_e32 v9, 0x3f737871, v43
	v_fmac_f32_e32 v41, 0x3f167918, v42
	v_add_f32_e32 v44, v45, v44
	v_fmac_f32_e32 v9, 0xbf167918, v42
	v_add_f32_e32 v43, v49, v76
	v_mul_f32_e32 v53, v87, v47
	v_fmac_f32_e32 v41, 0x3e9e377a, v44
	v_fmac_f32_e32 v9, 0x3e9e377a, v44
	v_fma_f32 v44, -0.5, v43, v10
	v_fmac_f32_e32 v73, v88, v48
	v_fmac_f32_e32 v53, v86, v46
	v_sub_f32_e32 v43, v74, v77
	v_mov_b32_e32 v46, v44
	v_fmac_f32_e32 v46, 0xbf737871, v43
	v_sub_f32_e32 v45, v75, v52
	v_sub_f32_e32 v47, v73, v49
	;; [unrolled: 1-line block ×3, first 2 shown]
	v_fmac_f32_e32 v44, 0x3f737871, v43
	v_fmac_f32_e32 v46, 0xbf167918, v45
	v_add_f32_e32 v47, v47, v48
	v_fmac_f32_e32 v44, 0x3f167918, v45
	v_fmac_f32_e32 v46, 0x3e9e377a, v47
	;; [unrolled: 1-line block ×3, first 2 shown]
	v_add_f32_e32 v47, v73, v53
	v_add_f32_e32 v42, v10, v73
	v_fma_f32 v10, -0.5, v47, v10
	v_mul_f32_e32 v78, v97, v51
	v_mov_b32_e32 v48, v10
	v_fmac_f32_e32 v78, v96, v50
	v_fmac_f32_e32 v48, 0x3f737871, v45
	v_sub_f32_e32 v47, v49, v73
	v_sub_f32_e32 v50, v76, v53
	v_fmac_f32_e32 v10, 0xbf737871, v45
	v_add_f32_e32 v45, v75, v52
	v_add_f32_e32 v42, v42, v49
	v_fmac_f32_e32 v48, 0xbf167918, v43
	v_add_f32_e32 v47, v47, v50
	v_fmac_f32_e32 v10, 0x3f167918, v43
	v_fma_f32 v45, -0.5, v45, v11
	v_add_f32_e32 v42, v42, v76
	v_fmac_f32_e32 v48, 0x3e9e377a, v47
	v_fmac_f32_e32 v10, 0x3e9e377a, v47
	v_sub_f32_e32 v50, v73, v53
	v_mov_b32_e32 v47, v45
	v_add_f32_e32 v42, v42, v53
	v_fmac_f32_e32 v47, 0x3f737871, v50
	v_sub_f32_e32 v51, v49, v76
	v_sub_f32_e32 v49, v74, v75
	;; [unrolled: 1-line block ×3, first 2 shown]
	v_fmac_f32_e32 v45, 0xbf737871, v50
	v_fmac_f32_e32 v47, 0x3f167918, v51
	v_add_f32_e32 v49, v49, v53
	v_fmac_f32_e32 v45, 0xbf167918, v51
	v_fmac_f32_e32 v47, 0x3e9e377a, v49
	;; [unrolled: 1-line block ×3, first 2 shown]
	v_add_f32_e32 v49, v74, v77
	v_add_f32_e32 v43, v11, v74
	v_fmac_f32_e32 v11, -0.5, v49
	v_mul_f32_e32 v82, v93, v55
	v_add_f32_e32 v43, v43, v75
	v_mov_b32_e32 v49, v11
	v_fmac_f32_e32 v82, v92, v54
	v_add_f32_e32 v43, v43, v52
	v_fmac_f32_e32 v49, 0xbf737871, v51
	v_sub_f32_e32 v53, v75, v74
	v_sub_f32_e32 v52, v52, v77
	v_fmac_f32_e32 v11, 0x3f737871, v51
	v_fmac_f32_e32 v49, 0x3f167918, v50
	v_add_f32_e32 v52, v53, v52
	v_fmac_f32_e32 v11, 0xbf167918, v50
	v_add_f32_e32 v51, v80, v82
	v_mul_f32_e32 v55, v95, v57
	v_fmac_f32_e32 v49, 0x3e9e377a, v52
	v_fmac_f32_e32 v11, 0x3e9e377a, v52
	v_fma_f32 v52, -0.5, v51, v0
	v_fmac_f32_e32 v55, v94, v56
	v_sub_f32_e32 v51, v79, v84
	v_mov_b32_e32 v54, v52
	v_fmac_f32_e32 v54, 0xbf737871, v51
	v_sub_f32_e32 v53, v81, v83
	v_sub_f32_e32 v56, v78, v80
	;; [unrolled: 1-line block ×3, first 2 shown]
	v_fmac_f32_e32 v52, 0x3f737871, v51
	v_fmac_f32_e32 v54, 0xbf167918, v53
	v_add_f32_e32 v56, v56, v57
	v_fmac_f32_e32 v52, 0x3f167918, v53
	v_fmac_f32_e32 v54, 0x3e9e377a, v56
	;; [unrolled: 1-line block ×3, first 2 shown]
	v_add_f32_e32 v56, v78, v55
	v_add_f32_e32 v50, v0, v78
	v_fma_f32 v0, -0.5, v56, v0
	v_mov_b32_e32 v56, v0
	v_add_f32_e32 v50, v50, v80
	v_fmac_f32_e32 v56, 0x3f737871, v53
	v_fmac_f32_e32 v0, 0xbf737871, v53
	v_add_f32_e32 v53, v81, v83
	v_add_f32_e32 v50, v50, v82
	v_sub_f32_e32 v57, v80, v78
	v_sub_f32_e32 v58, v82, v55
	v_fma_f32 v53, -0.5, v53, v1
	v_add_f32_e32 v50, v50, v55
	v_fmac_f32_e32 v56, 0xbf167918, v51
	v_add_f32_e32 v57, v57, v58
	v_fmac_f32_e32 v0, 0x3f167918, v51
	v_sub_f32_e32 v58, v78, v55
	v_mov_b32_e32 v55, v53
	v_fmac_f32_e32 v56, 0x3e9e377a, v57
	v_fmac_f32_e32 v0, 0x3e9e377a, v57
	;; [unrolled: 1-line block ×3, first 2 shown]
	v_sub_f32_e32 v59, v80, v82
	v_sub_f32_e32 v57, v79, v81
	;; [unrolled: 1-line block ×3, first 2 shown]
	v_fmac_f32_e32 v53, 0xbf737871, v58
	v_fmac_f32_e32 v55, 0x3f167918, v59
	v_add_f32_e32 v57, v57, v60
	v_fmac_f32_e32 v53, 0xbf167918, v59
	v_fmac_f32_e32 v55, 0x3e9e377a, v57
	;; [unrolled: 1-line block ×3, first 2 shown]
	v_add_f32_e32 v57, v79, v84
	v_add_f32_e32 v51, v1, v79
	v_fmac_f32_e32 v1, -0.5, v57
	v_mov_b32_e32 v57, v1
	v_sub_f32_e32 v60, v81, v79
	v_sub_f32_e32 v61, v83, v84
	v_fmac_f32_e32 v1, 0x3f737871, v59
	v_add_f32_e32 v51, v51, v81
	v_fmac_f32_e32 v57, 0xbf737871, v59
	v_add_f32_e32 v60, v60, v61
	v_fmac_f32_e32 v1, 0xbf167918, v58
	v_mad_u64_u32 v[12:13], s[2:3], s10, v172, 0
	v_add_f32_e32 v51, v51, v83
	v_fmac_f32_e32 v57, 0x3f167918, v58
	v_fmac_f32_e32 v1, 0x3e9e377a, v60
	v_add_f32_e32 v27, v27, v67
	v_add_f32_e32 v43, v43, v77
	;; [unrolled: 1-line block ×3, first 2 shown]
	v_fmac_f32_e32 v57, 0x3e9e377a, v60
	ds_write_b64 v209, v[22:23] offset:2240
	ds_write_b64 v209, v[24:25] offset:4480
	;; [unrolled: 1-line block ×4, first 2 shown]
	ds_write2_b64 v209, v[2:3], v[26:27] offset1:56
	ds_write2_b64 v17, v[30:31], v[38:39] offset0:80 offset1:136
	ds_write2_b64 v14, v[32:33], v[40:41] offset0:104 offset1:160
	;; [unrolled: 1-line block ×5, first 2 shown]
	ds_write_b64 v209, v[48:49] offset:5824
	ds_write_b64 v209, v[10:11] offset:8064
	ds_write_b64 v209, v[44:45] offset:10304
	ds_write_b64 v209, v[50:51] offset:1792
	ds_write2_b64 v17, v[46:47], v[54:55] offset0:192 offset1:248
	ds_write_b64 v209, v[56:57] offset:6272
	ds_write_b64 v209, v[0:1] offset:8512
	ds_write_b64 v209, v[52:53] offset:10752
	s_waitcnt lgkmcnt(0)
	; wave barrier
	s_waitcnt lgkmcnt(0)
	ds_read2_b64 v[0:3], v209 offset1:56
	v_mov_b32_e32 v4, v13
	v_mad_u64_u32 v[4:5], s[2:3], s11, v172, v[4:5]
	s_mov_b32 s2, 0xe434a9b1
	s_waitcnt lgkmcnt(0)
	v_mul_f32_e32 v5, v182, v1
	v_fmac_f32_e32 v5, v181, v0
	v_cvt_f64_f32_e32 v[5:6], v5
	s_mov_b32 s3, 0x3f4767dc
	v_mul_f32_e32 v0, v182, v0
	v_fma_f32 v0, v181, v1, -v0
	v_mul_f64 v[5:6], v[5:6], s[2:3]
	v_cvt_f64_f32_e32 v[0:1], v0
	v_mad_u64_u32 v[8:9], s[4:5], s8, v211, 0
	v_mov_b32_e32 v13, v4
	v_mul_f64 v[0:1], v[0:1], s[2:3]
	v_mov_b32_e32 v4, v9
	v_mov_b32_e32 v20, s7
	v_mad_u64_u32 v[9:10], s[4:5], s9, v211, v[4:5]
	v_cvt_f32_f64_e32 v10, v[5:6]
	ds_read2_b64 v[4:7], v14 offset0:188 offset1:244
	v_lshlrev_b64 v[8:9], 3, v[8:9]
	v_cvt_f32_f64_e32 v11, v[0:1]
	v_lshlrev_b64 v[0:1], 3, v[12:13]
	s_mul_i32 s4, s9, 0x2bc
	s_waitcnt lgkmcnt(0)
	v_mul_f32_e32 v12, v180, v5
	v_fmac_f32_e32 v12, v179, v4
	v_cvt_f64_f32_e32 v[12:13], v12
	v_add_co_u32_e32 v24, vcc, s6, v0
	v_addc_co_u32_e32 v25, vcc, v20, v1, vcc
	v_mul_f64 v[0:1], v[12:13], s[2:3]
	v_mul_f32_e32 v4, v180, v4
	v_fma_f32 v4, v179, v5, -v4
	v_cvt_f64_f32_e32 v[4:5], v4
	v_add_co_u32_e32 v8, vcc, v24, v8
	v_addc_co_u32_e32 v9, vcc, v25, v9, vcc
	global_store_dwordx2 v[8:9], v[10:11], off
	v_cvt_f32_f64_e32 v10, v[0:1]
	v_mul_f32_e32 v0, v176, v3
	v_mul_f64 v[4:5], v[4:5], s[2:3]
	v_fmac_f32_e32 v0, v175, v2
	v_mul_f32_e32 v2, v176, v2
	v_fma_f32 v2, v175, v3, -v2
	v_cvt_f64_f32_e32 v[2:3], v2
	v_cvt_f64_f32_e32 v[0:1], v0
	s_mul_hi_u32 s5, s8, 0x2bc
	s_add_i32 s5, s5, s4
	v_mul_f64 v[2:3], v[2:3], s[2:3]
	v_cvt_f32_f64_e32 v11, v[4:5]
	v_mul_f64 v[4:5], v[0:1], s[2:3]
	s_mul_i32 s4, s8, 0x2bc
	s_lshl_b64 s[4:5], s[4:5], 3
	v_mov_b32_e32 v1, s5
	v_add_co_u32_e32 v8, vcc, s4, v8
	v_mul_f32_e32 v0, v174, v7
	v_addc_co_u32_e32 v9, vcc, v9, v1, vcc
	v_fmac_f32_e32 v0, v173, v6
	global_store_dwordx2 v[8:9], v[10:11], off
	v_cvt_f32_f64_e32 v11, v[2:3]
	v_cvt_f64_f32_e32 v[2:3], v0
	v_mul_f32_e32 v0, v174, v6
	v_fma_f32 v0, v173, v7, -v0
	v_cvt_f32_f64_e32 v10, v[4:5]
	v_cvt_f64_f32_e32 v[4:5], v0
	v_mul_f64 v[6:7], v[2:3], s[2:3]
	s_mul_hi_u32 s7, s8, 0xfffffd7c
	s_mul_i32 s6, s9, 0xfffffd7c
	v_mul_f64 v[12:13], v[4:5], s[2:3]
	s_sub_i32 s7, s7, s8
	ds_read2_b64 v[2:5], v209 offset0:112 offset1:168
	s_add_i32 s7, s7, s6
	s_mul_i32 s6, s8, 0xfffffd7c
	s_lshl_b64 s[6:7], s[6:7], 3
	v_mov_b32_e32 v0, s7
	v_add_co_u32_e32 v20, vcc, s6, v8
	v_addc_co_u32_e32 v21, vcc, v9, v0, vcc
	global_store_dwordx2 v[20:21], v[10:11], off
	v_cvt_f32_f64_e32 v10, v[6:7]
	s_waitcnt lgkmcnt(0)
	v_mul_f32_e32 v6, v169, v3
	v_fmac_f32_e32 v6, v168, v2
	v_cvt_f32_f64_e32 v11, v[12:13]
	v_cvt_f64_f32_e32 v[12:13], v6
	ds_read2_b64 v[6:9], v18 offset0:44 offset1:100
	v_mul_f32_e32 v2, v169, v2
	v_fma_f32 v2, v168, v3, -v2
	v_cvt_f64_f32_e32 v[2:3], v2
	v_mul_f64 v[12:13], v[12:13], s[2:3]
	s_waitcnt lgkmcnt(0)
	v_mul_f32_e32 v22, v165, v7
	v_fmac_f32_e32 v22, v164, v6
	v_mul_f32_e32 v6, v165, v6
	v_fma_f32 v6, v164, v7, -v6
	v_mul_f64 v[2:3], v[2:3], s[2:3]
	v_cvt_f64_f32_e32 v[6:7], v6
	v_cvt_f64_f32_e32 v[22:23], v22
	v_add_co_u32_e32 v20, vcc, s4, v20
	v_mul_f64 v[6:7], v[6:7], s[2:3]
	v_addc_co_u32_e32 v21, vcc, v21, v1, vcc
	global_store_dwordx2 v[20:21], v[10:11], off
	v_cvt_f32_f64_e32 v10, v[12:13]
	v_cvt_f32_f64_e32 v11, v[2:3]
	v_mul_f64 v[12:13], v[22:23], s[2:3]
	v_add_co_u32_e32 v2, vcc, s6, v20
	v_addc_co_u32_e32 v3, vcc, v21, v0, vcc
	global_store_dwordx2 v[2:3], v[10:11], off
	v_cvt_f32_f64_e32 v11, v[6:7]
	v_mul_f32_e32 v6, v163, v5
	v_fmac_f32_e32 v6, v162, v4
	v_mul_f32_e32 v4, v163, v4
	v_cvt_f64_f32_e32 v[6:7], v6
	v_fma_f32 v4, v162, v5, -v4
	v_cvt_f64_f32_e32 v[4:5], v4
	v_cvt_f32_f64_e32 v10, v[12:13]
	v_add_co_u32_e32 v12, vcc, s4, v2
	v_addc_co_u32_e32 v13, vcc, v3, v1, vcc
	v_mul_f64 v[2:3], v[6:7], s[2:3]
	v_mul_f32_e32 v6, v200, v9
	v_mul_f64 v[4:5], v[4:5], s[2:3]
	v_fmac_f32_e32 v6, v199, v8
	v_cvt_f64_f32_e32 v[6:7], v6
	v_mul_f32_e32 v8, v200, v8
	v_fma_f32 v8, v199, v9, -v8
	v_cvt_f64_f32_e32 v[8:9], v8
	v_mul_f64 v[6:7], v[6:7], s[2:3]
	global_store_dwordx2 v[12:13], v[10:11], off
	v_cvt_f32_f64_e32 v10, v[2:3]
	v_mul_f64 v[8:9], v[8:9], s[2:3]
	v_cvt_f32_f64_e32 v11, v[4:5]
	ds_read2_b64 v[2:5], v19 offset0:96 offset1:152
	v_add_co_u32_e32 v12, vcc, s6, v12
	v_addc_co_u32_e32 v13, vcc, v13, v0, vcc
	global_store_dwordx2 v[12:13], v[10:11], off
	v_cvt_f32_f64_e32 v10, v[6:7]
	s_waitcnt lgkmcnt(0)
	v_mul_f32_e32 v6, v198, v3
	v_fmac_f32_e32 v6, v197, v2
	v_cvt_f32_f64_e32 v11, v[8:9]
	v_cvt_f64_f32_e32 v[19:20], v6
	ds_read2_b64 v[6:9], v18 offset0:156 offset1:212
	v_mul_f32_e32 v2, v198, v2
	v_fma_f32 v2, v197, v3, -v2
	v_cvt_f64_f32_e32 v[2:3], v2
	v_mul_f64 v[18:19], v[19:20], s[2:3]
	s_waitcnt lgkmcnt(0)
	v_mul_f32_e32 v20, v194, v7
	v_fmac_f32_e32 v20, v193, v6
	v_mul_f32_e32 v6, v194, v6
	v_fma_f32 v6, v193, v7, -v6
	v_mul_f64 v[2:3], v[2:3], s[2:3]
	v_cvt_f64_f32_e32 v[6:7], v6
	v_add_co_u32_e32 v12, vcc, s4, v12
	v_addc_co_u32_e32 v13, vcc, v13, v1, vcc
	v_mul_f64 v[6:7], v[6:7], s[2:3]
	global_store_dwordx2 v[12:13], v[10:11], off
	v_cvt_f32_f64_e32 v10, v[18:19]
	v_cvt_f32_f64_e32 v11, v[2:3]
	v_add_co_u32_e32 v2, vcc, s6, v12
	v_cvt_f64_f32_e32 v[20:21], v20
	v_addc_co_u32_e32 v3, vcc, v13, v0, vcc
	global_store_dwordx2 v[2:3], v[10:11], off
	v_cvt_f32_f64_e32 v11, v[6:7]
	v_mul_f32_e32 v6, v196, v5
	v_fmac_f32_e32 v6, v195, v4
	v_mul_f32_e32 v4, v196, v4
	v_cvt_f64_f32_e32 v[6:7], v6
	v_fma_f32 v4, v195, v5, -v4
	v_mul_f64 v[18:19], v[20:21], s[2:3]
	v_cvt_f64_f32_e32 v[4:5], v4
	v_add_co_u32_e32 v12, vcc, s4, v2
	v_addc_co_u32_e32 v13, vcc, v3, v1, vcc
	v_mul_f64 v[2:3], v[6:7], s[2:3]
	v_mul_f32_e32 v6, v190, v9
	v_mul_f64 v[4:5], v[4:5], s[2:3]
	v_fmac_f32_e32 v6, v189, v8
	v_cvt_f64_f32_e32 v[6:7], v6
	v_mul_f32_e32 v8, v190, v8
	v_fma_f32 v8, v189, v9, -v8
	v_cvt_f64_f32_e32 v[8:9], v8
	v_cvt_f32_f64_e32 v10, v[18:19]
	v_mul_f64 v[6:7], v[6:7], s[2:3]
	s_movk_i32 s10, 0x2000
	v_mul_f64 v[8:9], v[8:9], s[2:3]
	global_store_dwordx2 v[12:13], v[10:11], off
	v_cvt_f32_f64_e32 v10, v[2:3]
	v_cvt_f32_f64_e32 v11, v[4:5]
	ds_read2_b64 v[2:5], v17 offset0:80 offset1:136
	v_add_co_u32_e32 v12, vcc, s6, v12
	v_addc_co_u32_e32 v13, vcc, v13, v0, vcc
	global_store_dwordx2 v[12:13], v[10:11], off
	v_cvt_f32_f64_e32 v10, v[6:7]
	s_waitcnt lgkmcnt(0)
	v_mul_f32_e32 v6, v192, v3
	v_fmac_f32_e32 v6, v191, v2
	v_cvt_f32_f64_e32 v11, v[8:9]
	v_cvt_f64_f32_e32 v[18:19], v6
	ds_read2_b64 v[6:9], v16 offset0:12 offset1:68
	v_mul_f32_e32 v2, v192, v2
	v_fma_f32 v2, v191, v3, -v2
	v_cvt_f64_f32_e32 v[2:3], v2
	v_mul_f64 v[18:19], v[18:19], s[2:3]
	s_waitcnt lgkmcnt(0)
	v_mul_f32_e32 v20, v188, v7
	v_fmac_f32_e32 v20, v187, v6
	v_mul_f32_e32 v6, v188, v6
	v_fma_f32 v6, v187, v7, -v6
	v_mul_f64 v[2:3], v[2:3], s[2:3]
	v_cvt_f64_f32_e32 v[6:7], v6
	v_add_co_u32_e32 v12, vcc, s4, v12
	v_addc_co_u32_e32 v13, vcc, v13, v1, vcc
	v_mul_f64 v[6:7], v[6:7], s[2:3]
	global_store_dwordx2 v[12:13], v[10:11], off
	v_cvt_f32_f64_e32 v10, v[18:19]
	v_cvt_f32_f64_e32 v11, v[2:3]
	v_add_co_u32_e32 v2, vcc, s6, v12
	v_cvt_f64_f32_e32 v[20:21], v20
	v_addc_co_u32_e32 v3, vcc, v13, v0, vcc
	global_store_dwordx2 v[2:3], v[10:11], off
	v_cvt_f32_f64_e32 v11, v[6:7]
	v_mul_f32_e32 v6, v186, v5
	v_fmac_f32_e32 v6, v185, v4
	v_mul_f32_e32 v4, v186, v4
	v_fma_f32 v4, v185, v5, -v4
	v_mul_f64 v[18:19], v[20:21], s[2:3]
	v_cvt_f64_f32_e32 v[6:7], v6
	v_cvt_f64_f32_e32 v[4:5], v4
	v_add_co_u32_e32 v12, vcc, s4, v2
	v_addc_co_u32_e32 v13, vcc, v3, v1, vcc
	v_mul_f64 v[2:3], v[6:7], s[2:3]
	v_mul_f64 v[4:5], v[4:5], s[2:3]
	v_cvt_f32_f64_e32 v10, v[18:19]
	v_mul_f32_e32 v6, v184, v9
	v_fmac_f32_e32 v6, v183, v8
	v_mul_f32_e32 v8, v184, v8
	v_fma_f32 v8, v183, v9, -v8
	v_cvt_f64_f32_e32 v[6:7], v6
	v_cvt_f64_f32_e32 v[8:9], v8
	global_store_dwordx2 v[12:13], v[10:11], off
	v_cvt_f32_f64_e32 v10, v[2:3]
	v_cvt_f32_f64_e32 v11, v[4:5]
	ds_read2_b64 v[2:5], v17 offset0:192 offset1:248
	v_mul_f64 v[6:7], v[6:7], s[2:3]
	v_mul_f64 v[8:9], v[8:9], s[2:3]
	v_add_co_u32_e32 v12, vcc, s6, v12
	s_waitcnt lgkmcnt(0)
	v_mul_f32_e32 v17, v178, v3
	v_fmac_f32_e32 v17, v177, v2
	v_cvt_f64_f32_e32 v[17:18], v17
	v_addc_co_u32_e32 v13, vcc, v13, v0, vcc
	v_cvt_f32_f64_e32 v6, v[6:7]
	v_cvt_f32_f64_e32 v7, v[8:9]
	v_mul_f64 v[8:9], v[17:18], s[2:3]
	global_store_dwordx2 v[12:13], v[10:11], off
	v_add_co_u32_e32 v10, vcc, s4, v12
	v_mul_f32_e32 v2, v178, v2
	v_addc_co_u32_e32 v11, vcc, v13, v1, vcc
	v_fma_f32 v2, v177, v3, -v2
	global_store_dwordx2 v[10:11], v[6:7], off
	v_cvt_f64_f32_e32 v[2:3], v2
	v_cvt_f32_f64_e32 v17, v[8:9]
	ds_read2_b64 v[6:9], v16 offset0:124 offset1:180
	v_mad_u64_u32 v[12:13], s[12:13], s8, v210, 0
	v_mul_f64 v[2:3], v[2:3], s[2:3]
	v_mad_u64_u32 v[19:20], s[12:13], s9, v210, v[13:14]
	s_waitcnt lgkmcnt(0)
	v_mul_f32_e32 v13, v171, v7
	v_fmac_f32_e32 v13, v170, v6
	v_mul_f32_e32 v6, v171, v6
	v_fma_f32 v6, v170, v7, -v6
	v_cvt_f64_f32_e32 v[20:21], v13
	v_cvt_f64_f32_e32 v[6:7], v6
	v_cvt_f32_f64_e32 v18, v[2:3]
	v_mov_b32_e32 v13, v19
	v_mul_f64 v[2:3], v[20:21], s[2:3]
	v_mul_f64 v[6:7], v[6:7], s[2:3]
	v_lshlrev_b64 v[12:13], 3, v[12:13]
	v_add_co_u32_e32 v12, vcc, v24, v12
	v_addc_co_u32_e32 v13, vcc, v25, v13, vcc
	v_cvt_f32_f64_e32 v2, v[2:3]
	v_cvt_f32_f64_e32 v3, v[6:7]
	v_mov_b32_e32 v6, 0x1c0
	v_mad_u64_u32 v[6:7], s[12:13], s8, v6, v[10:11]
	v_mul_f32_e32 v10, v167, v5
	v_fmac_f32_e32 v10, v166, v4
	v_mul_f32_e32 v4, v167, v4
	v_fma_f32 v4, v166, v5, -v4
	v_cvt_f64_f32_e32 v[10:11], v10
	v_cvt_f64_f32_e32 v[4:5], v4
	s_mul_i32 s8, s9, 0x1c0
	v_add_u32_e32 v7, s8, v7
	global_store_dwordx2 v[12:13], v[17:18], off
	global_store_dwordx2 v[6:7], v[2:3], off
	v_mul_f64 v[2:3], v[10:11], s[2:3]
	v_mul_f64 v[4:5], v[4:5], s[2:3]
	v_mul_f32_e32 v10, v161, v9
	v_fmac_f32_e32 v10, v160, v8
	v_mul_f32_e32 v8, v161, v8
	v_fma_f32 v8, v160, v9, -v8
	v_cvt_f64_f32_e32 v[10:11], v10
	v_cvt_f64_f32_e32 v[8:9], v8
	v_cvt_f32_f64_e32 v12, v[2:3]
	v_cvt_f32_f64_e32 v13, v[4:5]
	v_mul_f64 v[10:11], v[10:11], s[2:3]
	v_mul_f64 v[8:9], v[8:9], s[2:3]
	ds_read2_b64 v[2:5], v14 offset0:48 offset1:104
	v_add_co_u32_e32 v16, vcc, s6, v6
	v_addc_co_u32_e32 v17, vcc, v7, v0, vcc
	s_waitcnt lgkmcnt(0)
	v_mul_f32_e32 v6, v155, v3
	v_fmac_f32_e32 v6, v154, v2
	global_store_dwordx2 v[16:17], v[12:13], off
	v_cvt_f32_f64_e32 v10, v[10:11]
	v_cvt_f32_f64_e32 v11, v[8:9]
	v_cvt_f64_f32_e32 v[12:13], v6
	ds_read2_b64 v[6:9], v15 offset0:108 offset1:164
	v_mul_f32_e32 v2, v155, v2
	v_fma_f32 v2, v154, v3, -v2
	v_cvt_f64_f32_e32 v[2:3], v2
	v_mul_f64 v[12:13], v[12:13], s[2:3]
	v_add_co_u32_e32 v14, vcc, s4, v16
	s_waitcnt lgkmcnt(0)
	v_mul_f32_e32 v16, v159, v7
	v_fmac_f32_e32 v16, v158, v6
	v_mul_f32_e32 v6, v159, v6
	v_fma_f32 v6, v158, v7, -v6
	v_addc_co_u32_e32 v15, vcc, v17, v1, vcc
	v_mul_f64 v[2:3], v[2:3], s[2:3]
	v_cvt_f64_f32_e32 v[16:17], v16
	v_cvt_f64_f32_e32 v[6:7], v6
	global_store_dwordx2 v[14:15], v[10:11], off
	v_cvt_f32_f64_e32 v10, v[12:13]
	v_mul_f64 v[12:13], v[16:17], s[2:3]
	v_mul_f64 v[6:7], v[6:7], s[2:3]
	v_cvt_f32_f64_e32 v11, v[2:3]
	v_add_co_u32_e32 v2, vcc, s6, v14
	v_addc_co_u32_e32 v3, vcc, v15, v0, vcc
	global_store_dwordx2 v[2:3], v[10:11], off
	v_cvt_f32_f64_e32 v10, v[12:13]
	v_cvt_f32_f64_e32 v11, v[6:7]
	v_mul_f32_e32 v6, v153, v5
	v_mul_f32_e32 v12, v157, v9
	v_fmac_f32_e32 v6, v152, v4
	v_mul_f32_e32 v4, v153, v4
	v_fmac_f32_e32 v12, v156, v8
	v_mul_f32_e32 v8, v157, v8
	v_fma_f32 v4, v152, v5, -v4
	v_fma_f32 v8, v156, v9, -v8
	v_cvt_f64_f32_e32 v[6:7], v6
	v_cvt_f64_f32_e32 v[4:5], v4
	;; [unrolled: 1-line block ×4, first 2 shown]
	v_add_co_u32_e32 v2, vcc, s4, v2
	v_addc_co_u32_e32 v3, vcc, v3, v1, vcc
	v_mul_f64 v[6:7], v[6:7], s[2:3]
	v_mul_f64 v[4:5], v[4:5], s[2:3]
	global_store_dwordx2 v[2:3], v[10:11], off
	v_mul_f64 v[10:11], v[12:13], s[2:3]
	v_mul_f64 v[8:9], v[8:9], s[2:3]
	v_add_co_u32_e32 v2, vcc, s6, v2
	v_addc_co_u32_e32 v3, vcc, v3, v0, vcc
	v_cvt_f32_f64_e32 v6, v[6:7]
	v_cvt_f32_f64_e32 v7, v[4:5]
	;; [unrolled: 1-line block ×4, first 2 shown]
	v_add_co_u32_e32 v0, vcc, s4, v2
	v_addc_co_u32_e32 v1, vcc, v3, v1, vcc
	global_store_dwordx2 v[2:3], v[6:7], off
	global_store_dwordx2 v[0:1], v[4:5], off
	s_and_b64 exec, exec, s[0:1]
	s_cbranch_execz .LBB0_39
; %bb.38:
	v_add_co_u32_e32 v2, vcc, 0x1000, v207
	v_addc_co_u32_e32 v3, vcc, 0, v208, vcc
	global_load_dwordx2 v[2:3], v[2:3], off offset:1280
	ds_read_b64 v[4:5], v209 offset:5376
	ds_read_b64 v[6:7], v209 offset:10976
	v_mov_b32_e32 v10, s7
	s_waitcnt vmcnt(0) lgkmcnt(1)
	v_mul_f32_e32 v8, v5, v3
	v_mul_f32_e32 v3, v4, v3
	v_fmac_f32_e32 v8, v4, v2
	v_fma_f32 v4, v2, v5, -v3
	v_cvt_f64_f32_e32 v[2:3], v8
	v_cvt_f64_f32_e32 v[4:5], v4
	v_add_co_u32_e32 v8, vcc, s10, v207
	v_mul_f64 v[2:3], v[2:3], s[2:3]
	v_mul_f64 v[4:5], v[4:5], s[2:3]
	v_addc_co_u32_e32 v9, vcc, 0, v208, vcc
	v_add_co_u32_e32 v0, vcc, s6, v0
	v_addc_co_u32_e32 v1, vcc, v1, v10, vcc
	v_cvt_f32_f64_e32 v2, v[2:3]
	v_cvt_f32_f64_e32 v3, v[4:5]
	global_store_dwordx2 v[0:1], v[2:3], off
	global_load_dwordx2 v[2:3], v[8:9], off offset:2784
	v_add_co_u32_e32 v0, vcc, s4, v0
	s_waitcnt vmcnt(0) lgkmcnt(0)
	v_mul_f32_e32 v4, v7, v3
	v_mul_f32_e32 v3, v6, v3
	v_fmac_f32_e32 v4, v6, v2
	v_fma_f32 v5, v2, v7, -v3
	v_cvt_f64_f32_e32 v[2:3], v4
	v_cvt_f64_f32_e32 v[4:5], v5
	v_mov_b32_e32 v6, s5
	v_addc_co_u32_e32 v1, vcc, v1, v6, vcc
	v_mul_f64 v[2:3], v[2:3], s[2:3]
	v_mul_f64 v[4:5], v[4:5], s[2:3]
	v_cvt_f32_f64_e32 v2, v[2:3]
	v_cvt_f32_f64_e32 v3, v[4:5]
	global_store_dwordx2 v[0:1], v[2:3], off
.LBB0_39:
	s_endpgm
	.section	.rodata,"a",@progbits
	.p2align	6, 0x0
	.amdhsa_kernel bluestein_single_back_len1400_dim1_sp_op_CI_CI
		.amdhsa_group_segment_fixed_size 11200
		.amdhsa_private_segment_fixed_size 108
		.amdhsa_kernarg_size 104
		.amdhsa_user_sgpr_count 6
		.amdhsa_user_sgpr_private_segment_buffer 1
		.amdhsa_user_sgpr_dispatch_ptr 0
		.amdhsa_user_sgpr_queue_ptr 0
		.amdhsa_user_sgpr_kernarg_segment_ptr 1
		.amdhsa_user_sgpr_dispatch_id 0
		.amdhsa_user_sgpr_flat_scratch_init 0
		.amdhsa_user_sgpr_private_segment_size 0
		.amdhsa_uses_dynamic_stack 0
		.amdhsa_system_sgpr_private_segment_wavefront_offset 1
		.amdhsa_system_sgpr_workgroup_id_x 1
		.amdhsa_system_sgpr_workgroup_id_y 0
		.amdhsa_system_sgpr_workgroup_id_z 0
		.amdhsa_system_sgpr_workgroup_info 0
		.amdhsa_system_vgpr_workitem_id 0
		.amdhsa_next_free_vgpr 256
		.amdhsa_next_free_sgpr 24
		.amdhsa_reserve_vcc 1
		.amdhsa_reserve_flat_scratch 0
		.amdhsa_float_round_mode_32 0
		.amdhsa_float_round_mode_16_64 0
		.amdhsa_float_denorm_mode_32 3
		.amdhsa_float_denorm_mode_16_64 3
		.amdhsa_dx10_clamp 1
		.amdhsa_ieee_mode 1
		.amdhsa_fp16_overflow 0
		.amdhsa_exception_fp_ieee_invalid_op 0
		.amdhsa_exception_fp_denorm_src 0
		.amdhsa_exception_fp_ieee_div_zero 0
		.amdhsa_exception_fp_ieee_overflow 0
		.amdhsa_exception_fp_ieee_underflow 0
		.amdhsa_exception_fp_ieee_inexact 0
		.amdhsa_exception_int_div_zero 0
	.end_amdhsa_kernel
	.text
.Lfunc_end0:
	.size	bluestein_single_back_len1400_dim1_sp_op_CI_CI, .Lfunc_end0-bluestein_single_back_len1400_dim1_sp_op_CI_CI
                                        ; -- End function
	.section	.AMDGPU.csdata,"",@progbits
; Kernel info:
; codeLenInByte = 26920
; NumSgprs: 28
; NumVgprs: 256
; ScratchSize: 108
; MemoryBound: 0
; FloatMode: 240
; IeeeMode: 1
; LDSByteSize: 11200 bytes/workgroup (compile time only)
; SGPRBlocks: 3
; VGPRBlocks: 63
; NumSGPRsForWavesPerEU: 28
; NumVGPRsForWavesPerEU: 256
; Occupancy: 1
; WaveLimiterHint : 1
; COMPUTE_PGM_RSRC2:SCRATCH_EN: 1
; COMPUTE_PGM_RSRC2:USER_SGPR: 6
; COMPUTE_PGM_RSRC2:TRAP_HANDLER: 0
; COMPUTE_PGM_RSRC2:TGID_X_EN: 1
; COMPUTE_PGM_RSRC2:TGID_Y_EN: 0
; COMPUTE_PGM_RSRC2:TGID_Z_EN: 0
; COMPUTE_PGM_RSRC2:TIDIG_COMP_CNT: 0
	.type	__hip_cuid_96b87739dbabd6fb,@object ; @__hip_cuid_96b87739dbabd6fb
	.section	.bss,"aw",@nobits
	.globl	__hip_cuid_96b87739dbabd6fb
__hip_cuid_96b87739dbabd6fb:
	.byte	0                               ; 0x0
	.size	__hip_cuid_96b87739dbabd6fb, 1

	.ident	"AMD clang version 19.0.0git (https://github.com/RadeonOpenCompute/llvm-project roc-6.4.0 25133 c7fe45cf4b819c5991fe208aaa96edf142730f1d)"
	.section	".note.GNU-stack","",@progbits
	.addrsig
	.addrsig_sym __hip_cuid_96b87739dbabd6fb
	.amdgpu_metadata
---
amdhsa.kernels:
  - .args:
      - .actual_access:  read_only
        .address_space:  global
        .offset:         0
        .size:           8
        .value_kind:     global_buffer
      - .actual_access:  read_only
        .address_space:  global
        .offset:         8
        .size:           8
        .value_kind:     global_buffer
      - .actual_access:  read_only
        .address_space:  global
        .offset:         16
        .size:           8
        .value_kind:     global_buffer
      - .actual_access:  read_only
        .address_space:  global
        .offset:         24
        .size:           8
        .value_kind:     global_buffer
      - .actual_access:  read_only
        .address_space:  global
        .offset:         32
        .size:           8
        .value_kind:     global_buffer
      - .offset:         40
        .size:           8
        .value_kind:     by_value
      - .address_space:  global
        .offset:         48
        .size:           8
        .value_kind:     global_buffer
      - .address_space:  global
        .offset:         56
        .size:           8
        .value_kind:     global_buffer
      - .address_space:  global
        .offset:         64
        .size:           8
        .value_kind:     global_buffer
      - .address_space:  global
        .offset:         72
        .size:           8
        .value_kind:     global_buffer
      - .offset:         80
        .size:           4
        .value_kind:     by_value
      - .address_space:  global
        .offset:         88
        .size:           8
        .value_kind:     global_buffer
      - .address_space:  global
        .offset:         96
        .size:           8
        .value_kind:     global_buffer
    .group_segment_fixed_size: 11200
    .kernarg_segment_align: 8
    .kernarg_segment_size: 104
    .language:       OpenCL C
    .language_version:
      - 2
      - 0
    .max_flat_workgroup_size: 56
    .name:           bluestein_single_back_len1400_dim1_sp_op_CI_CI
    .private_segment_fixed_size: 108
    .sgpr_count:     28
    .sgpr_spill_count: 0
    .symbol:         bluestein_single_back_len1400_dim1_sp_op_CI_CI.kd
    .uniform_work_group_size: 1
    .uses_dynamic_stack: false
    .vgpr_count:     256
    .vgpr_spill_count: 26
    .wavefront_size: 64
amdhsa.target:   amdgcn-amd-amdhsa--gfx906
amdhsa.version:
  - 1
  - 2
...

	.end_amdgpu_metadata
